;; amdgpu-corpus repo=ROCm/rocFFT kind=compiled arch=gfx906 opt=O3
	.text
	.amdgcn_target "amdgcn-amd-amdhsa--gfx906"
	.amdhsa_code_object_version 6
	.protected	bluestein_single_back_len3125_dim1_half_op_CI_CI ; -- Begin function bluestein_single_back_len3125_dim1_half_op_CI_CI
	.globl	bluestein_single_back_len3125_dim1_half_op_CI_CI
	.p2align	8
	.type	bluestein_single_back_len3125_dim1_half_op_CI_CI,@function
bluestein_single_back_len3125_dim1_half_op_CI_CI: ; @bluestein_single_back_len3125_dim1_half_op_CI_CI
; %bb.0:
	s_load_dwordx4 s[16:19], s[4:5], 0x28
	v_mul_u32_u24_e32 v1, 0x20d, v0
	v_add_u32_sdwa v76, s6, v1 dst_sel:DWORD dst_unused:UNUSED_PAD src0_sel:DWORD src1_sel:WORD_1
	v_mov_b32_e32 v77, 0
	s_waitcnt lgkmcnt(0)
	v_cmp_gt_u64_e32 vcc, s[16:17], v[76:77]
	s_and_saveexec_b64 s[0:1], vcc
	s_cbranch_execz .LBB0_2
; %bb.1:
	s_load_dwordx4 s[8:11], s[4:5], 0x18
	s_load_dwordx4 s[0:3], s[4:5], 0x0
	s_movk_i32 s16, 0x7d
	v_mul_lo_u16_sdwa v1, v1, s16 dst_sel:DWORD dst_unused:UNUSED_PAD src0_sel:WORD_1 src1_sel:DWORD
	v_sub_u16_e32 v111, v0, v1
	s_waitcnt lgkmcnt(0)
	s_load_dwordx4 s[12:15], s[8:9], 0x0
	v_lshlrev_b32_e32 v81, 2, v111
	global_load_dword v113, v81, s[0:1]
	v_add_u32_e32 v109, 0xa00, v81
	v_add_u32_e32 v119, 0x1400, v81
	s_waitcnt lgkmcnt(0)
	v_mad_u64_u32 v[0:1], s[6:7], s14, v76, 0
	v_mad_u64_u32 v[2:3], s[6:7], s12, v111, 0
	s_movk_i32 s14, 0x1000
	v_add_u32_e32 v107, 0x1e00, v81
	v_mad_u64_u32 v[4:5], s[6:7], s15, v76, v[1:2]
	s_movk_i32 s15, 0x2000
	v_add_u32_e32 v120, 0x2800, v81
	v_mad_u64_u32 v[5:6], s[6:7], s13, v111, v[3:4]
	v_mov_b32_e32 v1, v4
	v_lshlrev_b64 v[0:1], 2, v[0:1]
	v_mov_b32_e32 v6, s19
	v_mov_b32_e32 v3, v5
	v_add_co_u32_e32 v4, vcc, s18, v0
	v_addc_co_u32_e32 v5, vcc, v6, v1, vcc
	v_lshlrev_b64 v[0:1], 2, v[2:3]
	s_mul_i32 s6, s13, 0x9c4
	v_add_co_u32_e32 v0, vcc, v4, v0
	v_addc_co_u32_e32 v1, vcc, v5, v1, vcc
	global_load_dword v6, v[0:1], off
	s_mul_hi_u32 s7, s12, 0x9c4
	s_add_i32 s6, s7, s6
	s_mul_i32 s7, s12, 0x9c4
	v_mov_b32_e32 v2, s6
	v_add_co_u32_e32 v0, vcc, s7, v0
	v_addc_co_u32_e32 v1, vcc, v1, v2, vcc
	v_mov_b32_e32 v2, s1
	v_add_co_u32_e32 v123, vcc, s0, v81
	v_addc_co_u32_e32 v124, vcc, 0, v2, vcc
	global_load_dword v7, v[0:1], off
	global_load_dword v110, v81, s[0:1] offset:2500
	v_add_co_u32_e32 v2, vcc, s14, v123
	v_addc_co_u32_e32 v3, vcc, 0, v124, vcc
	v_mov_b32_e32 v4, s6
	v_add_co_u32_e32 v0, vcc, s7, v0
	v_addc_co_u32_e32 v1, vcc, v1, v4, vcc
	s_load_dwordx4 s[8:11], s[10:11], 0x0
	global_load_dword v102, v81, s[0:1] offset:3000
	global_load_dword v95, v81, s[0:1] offset:3500
	;; [unrolled: 1-line block ×6, first 2 shown]
	global_load_dword v8, v[0:1], off
	v_add_co_u32_e32 v4, vcc, s15, v123
	v_addc_co_u32_e32 v5, vcc, 0, v124, vcc
	global_load_dword v114, v[2:3], off offset:904
	global_load_dword v112, v[2:3], off offset:3404
	global_load_dword v108, v[4:5], off offset:1808
	v_mov_b32_e32 v9, s6
	v_add_co_u32_e32 v0, vcc, s7, v0
	v_addc_co_u32_e32 v1, vcc, v1, v9, vcc
	global_load_dword v9, v[0:1], off
	v_mov_b32_e32 v10, s6
	v_add_co_u32_e32 v0, vcc, s7, v0
	s_mul_hi_u32 s15, s12, 0xffffdae4
	v_addc_co_u32_e32 v1, vcc, v1, v10, vcc
	s_mul_i32 s14, s13, 0xffffdae4
	s_mul_i32 s13, s12, 0xffffdae4
	s_sub_i32 s12, s15, s12
	global_load_dword v10, v[0:1], off
	s_add_i32 s12, s12, s14
	v_mov_b32_e32 v12, s12
	v_add_co_u32_e32 v0, vcc, s13, v0
	v_addc_co_u32_e32 v1, vcc, v1, v12, vcc
	global_load_dword v12, v[0:1], off
	v_mov_b32_e32 v11, s6
	v_add_co_u32_e32 v0, vcc, s7, v0
	v_addc_co_u32_e32 v1, vcc, v1, v11, vcc
	global_load_dword v11, v[0:1], off
	v_add_co_u32_e32 v0, vcc, s7, v0
	v_mov_b32_e32 v16, s6
	v_mov_b32_e32 v17, s6
	;; [unrolled: 1-line block ×4, first 2 shown]
	v_add_u32_e32 v104, 0x200, v81
	v_add_u32_e32 v94, 0xe00, v81
	;; [unrolled: 1-line block ×11, first 2 shown]
	s_load_dwordx2 s[4:5], s[4:5], 0x38
	s_waitcnt vmcnt(16)
	v_lshrrev_b32_e32 v13, 16, v6
	v_mul_f16_sdwa v14, v113, v6 dst_sel:DWORD dst_unused:UNUSED_PAD src0_sel:WORD_1 src1_sel:DWORD
	v_mul_f16_sdwa v15, v113, v13 dst_sel:DWORD dst_unused:UNUSED_PAD src0_sel:WORD_1 src1_sel:DWORD
	v_fma_f16 v13, v113, v13, -v14
	v_fma_f16 v6, v113, v6, v15
	v_pack_b32_f16 v6, v6, v13
	v_mov_b32_e32 v13, s6
	v_addc_co_u32_e32 v1, vcc, v1, v13, vcc
	global_load_dword v13, v[0:1], off
	global_load_dword v105, v[2:3], off offset:1404
	v_add_co_u32_e32 v0, vcc, s7, v0
	v_addc_co_u32_e32 v1, vcc, v1, v16, vcc
	global_load_dword v16, v[0:1], off
	global_load_dword v103, v[2:3], off offset:3904
	v_add_co_u32_e32 v0, vcc, s7, v0
	;; [unrolled: 4-line block ×3, first 2 shown]
	v_addc_co_u32_e32 v1, vcc, v1, v18, vcc
	global_load_dword v18, v[0:1], off
	v_add_co_u32_e32 v0, vcc, s7, v0
	v_addc_co_u32_e32 v1, vcc, v1, v19, vcc
	global_load_dword v19, v[0:1], off
	s_waitcnt vmcnt(23)
	v_lshrrev_b32_e32 v14, 16, v7
	s_waitcnt vmcnt(22)
	v_mul_f16_sdwa v15, v110, v14 dst_sel:DWORD dst_unused:UNUSED_PAD src0_sel:WORD_1 src1_sel:DWORD
	v_fma_f16 v15, v110, v7, v15
	v_mul_f16_sdwa v7, v110, v7 dst_sel:DWORD dst_unused:UNUSED_PAD src0_sel:WORD_1 src1_sel:DWORD
	v_fma_f16 v7, v110, v14, -v7
	v_pack_b32_f16 v7, v15, v7
	ds_write_b32 v81, v7 offset:2500
	s_waitcnt vmcnt(15)
	v_lshrrev_b32_e32 v7, 16, v8
	global_load_dword v98, v[2:3], off offset:1904
	global_load_dword v89, v[2:3], off offset:2404
	;; [unrolled: 1-line block ×4, first 2 shown]
	s_waitcnt vmcnt(18)
	v_mul_f16_sdwa v2, v114, v7 dst_sel:DWORD dst_unused:UNUSED_PAD src0_sel:WORD_1 src1_sel:DWORD
	v_fma_f16 v2, v114, v8, v2
	v_mul_f16_sdwa v3, v114, v8 dst_sel:DWORD dst_unused:UNUSED_PAD src0_sel:WORD_1 src1_sel:DWORD
	v_mov_b32_e32 v8, s6
	v_add_co_u32_e32 v0, vcc, s7, v0
	v_addc_co_u32_e32 v1, vcc, v1, v8, vcc
	global_load_dword v8, v[0:1], off
	v_fma_f16 v3, v114, v7, -v3
	v_pack_b32_f16 v2, v2, v3
	ds_write_b32 v81, v2 offset:5000
	s_waitcnt vmcnt(16)
	v_lshrrev_b32_e32 v2, 16, v9
	v_mul_f16_sdwa v3, v112, v2 dst_sel:DWORD dst_unused:UNUSED_PAD src0_sel:WORD_1 src1_sel:DWORD
	v_mul_f16_sdwa v7, v112, v9 dst_sel:DWORD dst_unused:UNUSED_PAD src0_sel:WORD_1 src1_sel:DWORD
	v_fma_f16 v3, v112, v9, v3
	v_fma_f16 v2, v112, v2, -v7
	v_pack_b32_f16 v2, v3, v2
	ds_write_b32 v81, v2 offset:7500
	s_waitcnt vmcnt(15)
	v_lshrrev_b32_e32 v2, 16, v10
	global_load_dword v96, v[4:5], off offset:308
	global_load_dword v88, v[4:5], off offset:808
	;; [unrolled: 1-line block ×6, first 2 shown]
	v_mul_f16_sdwa v3, v108, v2 dst_sel:DWORD dst_unused:UNUSED_PAD src0_sel:WORD_1 src1_sel:DWORD
	v_mul_f16_sdwa v4, v108, v10 dst_sel:DWORD dst_unused:UNUSED_PAD src0_sel:WORD_1 src1_sel:DWORD
	v_fma_f16 v3, v108, v10, v3
	v_fma_f16 v2, v108, v2, -v4
	v_pack_b32_f16 v2, v3, v2
	ds_write_b32 v81, v2 offset:10000
	s_waitcnt vmcnt(20)
	v_lshrrev_b32_e32 v2, 16, v12
	v_mul_f16_sdwa v3, v106, v2 dst_sel:DWORD dst_unused:UNUSED_PAD src0_sel:WORD_1 src1_sel:DWORD
	v_mul_f16_sdwa v4, v106, v12 dst_sel:DWORD dst_unused:UNUSED_PAD src0_sel:WORD_1 src1_sel:DWORD
	v_fma_f16 v3, v106, v12, v3
	v_fma_f16 v2, v106, v2, -v4
	v_pack_b32_f16 v2, v3, v2
	ds_write2_b32 v81, v6, v2 offset1:125
	s_waitcnt vmcnt(19)
	v_lshrrev_b32_e32 v2, 16, v11
	v_mul_f16_sdwa v3, v102, v2 dst_sel:DWORD dst_unused:UNUSED_PAD src0_sel:WORD_1 src1_sel:DWORD
	v_mul_f16_sdwa v4, v102, v11 dst_sel:DWORD dst_unused:UNUSED_PAD src0_sel:WORD_1 src1_sel:DWORD
	v_fma_f16 v3, v102, v11, v3
	v_fma_f16 v2, v102, v2, -v4
	v_pack_b32_f16 v2, v3, v2
	v_mov_b32_e32 v11, s6
	v_add_co_u32_e32 v0, vcc, s7, v0
	v_addc_co_u32_e32 v1, vcc, v1, v11, vcc
	global_load_dword v11, v[0:1], off
	v_add_co_u32_e32 v0, vcc, s7, v0
	v_mov_b32_e32 v12, s6
	s_waitcnt vmcnt(19)
	v_lshrrev_b32_e32 v3, 16, v13
	s_waitcnt vmcnt(18)
	v_mul_f16_sdwa v4, v105, v3 dst_sel:DWORD dst_unused:UNUSED_PAD src0_sel:WORD_1 src1_sel:DWORD
	v_mul_f16_sdwa v5, v105, v13 dst_sel:DWORD dst_unused:UNUSED_PAD src0_sel:WORD_1 src1_sel:DWORD
	v_fma_f16 v4, v105, v13, v4
	v_fma_f16 v3, v105, v3, -v5
	v_pack_b32_f16 v3, v4, v3
	s_waitcnt vmcnt(17)
	v_lshrrev_b32_e32 v4, 16, v16
	s_waitcnt vmcnt(16)
	v_mul_f16_sdwa v5, v103, v4 dst_sel:DWORD dst_unused:UNUSED_PAD src0_sel:WORD_1 src1_sel:DWORD
	v_mul_f16_sdwa v6, v103, v16 dst_sel:DWORD dst_unused:UNUSED_PAD src0_sel:WORD_1 src1_sel:DWORD
	v_fma_f16 v5, v103, v16, v5
	v_fma_f16 v4, v103, v4, -v6
	v_pack_b32_f16 v4, v5, v4
	;; [unrolled: 8-line block ×3, first 2 shown]
	s_waitcnt vmcnt(13)
	v_lshrrev_b32_e32 v6, 16, v18
	v_mul_f16_sdwa v7, v97, v6 dst_sel:DWORD dst_unused:UNUSED_PAD src0_sel:WORD_1 src1_sel:DWORD
	v_mul_f16_sdwa v9, v97, v18 dst_sel:DWORD dst_unused:UNUSED_PAD src0_sel:WORD_1 src1_sel:DWORD
	v_fma_f16 v7, v97, v18, v7
	v_fma_f16 v6, v97, v6, -v9
	v_pack_b32_f16 v6, v7, v6
	s_waitcnt vmcnt(12)
	v_lshrrev_b32_e32 v7, 16, v19
	v_mul_f16_sdwa v9, v95, v7 dst_sel:DWORD dst_unused:UNUSED_PAD src0_sel:WORD_1 src1_sel:DWORD
	v_mul_f16_sdwa v10, v95, v19 dst_sel:DWORD dst_unused:UNUSED_PAD src0_sel:WORD_1 src1_sel:DWORD
	v_fma_f16 v9, v95, v19, v9
	v_fma_f16 v7, v95, v7, -v10
	v_pack_b32_f16 v7, v9, v7
	v_mov_b32_e32 v9, s6
	v_addc_co_u32_e32 v1, vcc, v1, v9, vcc
	global_load_dword v9, v[0:1], off
	ds_write2_b32 v109, v2, v7 offset0:110 offset1:235
	v_mov_b32_e32 v2, s12
	v_add_co_u32_e32 v0, vcc, s13, v0
	v_addc_co_u32_e32 v1, vcc, v1, v2, vcc
	global_load_dword v2, v[0:1], off
	v_mov_b32_e32 v10, s6
	v_add_co_u32_e32 v0, vcc, s7, v0
	v_addc_co_u32_e32 v1, vcc, v1, v10, vcc
	global_load_dword v10, v[0:1], off
	global_load_dword v92, v81, s[0:1] offset:4000
	v_add_co_u32_e32 v0, vcc, s7, v0
	v_addc_co_u32_e32 v1, vcc, v1, v12, vcc
	global_load_dword v12, v[0:1], off
	v_mov_b32_e32 v13, s6
	v_add_co_u32_e32 v0, vcc, s7, v0
	v_addc_co_u32_e32 v1, vcc, v1, v13, vcc
	global_load_dword v13, v[0:1], off
	v_mov_b32_e32 v14, s6
	;; [unrolled: 4-line block ×5, first 2 shown]
	v_add_co_u32_e32 v0, vcc, s7, v0
	s_waitcnt vmcnt(16)
	v_lshrrev_b32_e32 v7, 16, v8
	v_addc_co_u32_e32 v1, vcc, v1, v18, vcc
	v_mul_f16_sdwa v16, v98, v7 dst_sel:DWORD dst_unused:UNUSED_PAD src0_sel:WORD_1 src1_sel:DWORD
	global_load_dword v18, v[0:1], off
	v_fma_f16 v16, v98, v8, v16
	v_mul_f16_sdwa v8, v98, v8 dst_sel:DWORD dst_unused:UNUSED_PAD src0_sel:WORD_1 src1_sel:DWORD
	v_fma_f16 v7, v98, v7, -v8
	v_mov_b32_e32 v8, s6
	v_add_co_u32_e32 v0, vcc, s7, v0
	v_addc_co_u32_e32 v1, vcc, v1, v8, vcc
	global_load_dword v8, v[0:1], off
	v_pack_b32_f16 v7, v16, v7
	ds_write2_b32 v119, v3, v7 offset0:95 offset1:220
	v_mov_b32_e32 v3, s6
	v_add_co_u32_e32 v0, vcc, s7, v0
	v_addc_co_u32_e32 v1, vcc, v1, v3, vcc
	global_load_dword v0, v[0:1], off
	s_waitcnt vmcnt(12)
	v_lshrrev_b32_e32 v1, 16, v11
	v_mul_f16_sdwa v3, v96, v1 dst_sel:DWORD dst_unused:UNUSED_PAD src0_sel:WORD_1 src1_sel:DWORD
	v_mul_f16_sdwa v7, v96, v11 dst_sel:DWORD dst_unused:UNUSED_PAD src0_sel:WORD_1 src1_sel:DWORD
	v_fma_f16 v3, v96, v11, v3
	v_fma_f16 v1, v96, v1, -v7
	v_pack_b32_f16 v1, v3, v1
	ds_write2_b32 v107, v4, v1 offset0:80 offset1:205
	s_movk_i32 s0, 0x3b9c
	s_mov_b32 s12, 0xbb9c
	s_movk_i32 s1, 0x38b4
	s_mov_b32 s7, 0xb8b4
	s_movk_i32 s6, 0x34f2
	s_waitcnt vmcnt(11)
	v_lshrrev_b32_e32 v1, 16, v9
	v_mul_f16_sdwa v3, v93, v1 dst_sel:DWORD dst_unused:UNUSED_PAD src0_sel:WORD_1 src1_sel:DWORD
	v_mul_f16_sdwa v4, v93, v9 dst_sel:DWORD dst_unused:UNUSED_PAD src0_sel:WORD_1 src1_sel:DWORD
	v_fma_f16 v3, v93, v9, v3
	v_fma_f16 v1, v93, v1, -v4
	v_pack_b32_f16 v1, v3, v1
	ds_write2_b32 v120, v5, v1 offset0:65 offset1:190
	s_waitcnt vmcnt(10)
	v_lshrrev_b32_e32 v1, 16, v2
	v_mul_f16_sdwa v3, v90, v1 dst_sel:DWORD dst_unused:UNUSED_PAD src0_sel:WORD_1 src1_sel:DWORD
	v_fma_f16 v3, v90, v2, v3
	v_mul_f16_sdwa v2, v90, v2 dst_sel:DWORD dst_unused:UNUSED_PAD src0_sel:WORD_1 src1_sel:DWORD
	v_fma_f16 v1, v90, v1, -v2
	v_pack_b32_f16 v1, v3, v1
	ds_write2_b32 v104, v6, v1 offset0:122 offset1:247
	s_waitcnt vmcnt(9)
	v_lshrrev_b32_e32 v1, 16, v10
	s_waitcnt vmcnt(8)
	v_mul_f16_sdwa v2, v92, v1 dst_sel:DWORD dst_unused:UNUSED_PAD src0_sel:WORD_1 src1_sel:DWORD
	v_mul_f16_sdwa v3, v92, v10 dst_sel:DWORD dst_unused:UNUSED_PAD src0_sel:WORD_1 src1_sel:DWORD
	v_fma_f16 v2, v92, v10, v2
	v_fma_f16 v1, v92, v1, -v3
	v_pack_b32_f16 v1, v2, v1
	s_waitcnt vmcnt(7)
	v_lshrrev_b32_e32 v2, 16, v12
	v_mul_f16_sdwa v3, v89, v2 dst_sel:DWORD dst_unused:UNUSED_PAD src0_sel:WORD_1 src1_sel:DWORD
	v_mul_f16_sdwa v4, v89, v12 dst_sel:DWORD dst_unused:UNUSED_PAD src0_sel:WORD_1 src1_sel:DWORD
	v_fma_f16 v3, v89, v12, v3
	v_fma_f16 v2, v89, v2, -v4
	v_pack_b32_f16 v2, v3, v2
	s_waitcnt vmcnt(6)
	v_lshrrev_b32_e32 v3, 16, v13
	;; [unrolled: 7-line block ×4, first 2 shown]
	v_mul_f16_sdwa v6, v85, v5 dst_sel:DWORD dst_unused:UNUSED_PAD src0_sel:WORD_1 src1_sel:DWORD
	v_mul_f16_sdwa v7, v85, v15 dst_sel:DWORD dst_unused:UNUSED_PAD src0_sel:WORD_1 src1_sel:DWORD
	v_fma_f16 v6, v85, v15, v6
	v_fma_f16 v5, v85, v5, -v7
	v_pack_b32_f16 v5, v6, v5
	ds_write_b32 v81, v5 offset:2000
	s_waitcnt vmcnt(3)
	v_lshrrev_b32_e32 v5, 16, v17
	v_mul_f16_sdwa v6, v86, v5 dst_sel:DWORD dst_unused:UNUSED_PAD src0_sel:WORD_1 src1_sel:DWORD
	v_mul_f16_sdwa v7, v86, v17 dst_sel:DWORD dst_unused:UNUSED_PAD src0_sel:WORD_1 src1_sel:DWORD
	v_fma_f16 v6, v86, v17, v6
	v_fma_f16 v5, v86, v5, -v7
	v_pack_b32_f16 v5, v6, v5
	ds_write2_b32 v94, v1, v5 offset0:104 offset1:229
	s_waitcnt vmcnt(2)
	v_lshrrev_b32_e32 v1, 16, v18
	v_mul_f16_sdwa v5, v84, v1 dst_sel:DWORD dst_unused:UNUSED_PAD src0_sel:WORD_1 src1_sel:DWORD
	v_mul_f16_sdwa v6, v84, v18 dst_sel:DWORD dst_unused:UNUSED_PAD src0_sel:WORD_1 src1_sel:DWORD
	v_fma_f16 v5, v84, v18, v5
	v_fma_f16 v1, v84, v1, -v6
	v_pack_b32_f16 v1, v5, v1
	ds_write2_b32 v121, v2, v1 offset0:89 offset1:214
	;; [unrolled: 8-line block ×3, first 2 shown]
	s_movk_i32 s13, 0xfa
	s_waitcnt vmcnt(0)
	v_lshrrev_b32_e32 v1, 16, v0
	v_mul_f16_sdwa v2, v82, v1 dst_sel:DWORD dst_unused:UNUSED_PAD src0_sel:WORD_1 src1_sel:DWORD
	v_fma_f16 v2, v82, v0, v2
	v_mul_f16_sdwa v0, v82, v0 dst_sel:DWORD dst_unused:UNUSED_PAD src0_sel:WORD_1 src1_sel:DWORD
	v_fma_f16 v0, v82, v1, -v0
	v_pack_b32_f16 v0, v2, v0
	ds_write2_b32 v122, v4, v0 offset0:59 offset1:184
	s_waitcnt lgkmcnt(0)
	s_barrier
	ds_read2_b32 v[8:9], v117 offset0:98 offset1:223
	ds_read2_b32 v[0:1], v116 offset0:86 offset1:211
	ds_read2_b32 v[6:7], v81 offset1:125
	ds_read2_b32 v[4:5], v118 offset0:116 offset1:241
	ds_read2_b32 v[10:11], v115 offset0:68 offset1:193
	;; [unrolled: 1-line block ×6, first 2 shown]
	s_waitcnt lgkmcnt(7)
	v_add_f16_e32 v22, v8, v1
	s_waitcnt lgkmcnt(6)
	v_fma_f16 v22, v22, -0.5, v6
	s_waitcnt lgkmcnt(4)
	v_sub_f16_sdwa v23, v5, v10 dst_sel:DWORD dst_unused:UNUSED_PAD src0_sel:WORD_1 src1_sel:WORD_1
	v_fma_f16 v25, v23, s0, v22
	v_sub_f16_sdwa v26, v8, v1 dst_sel:DWORD dst_unused:UNUSED_PAD src0_sel:WORD_1 src1_sel:WORD_1
	v_sub_f16_e32 v27, v5, v8
	v_sub_f16_e32 v28, v10, v1
	v_fma_f16 v22, v23, s12, v22
	v_fma_f16 v25, v26, s1, v25
	v_add_f16_e32 v27, v27, v28
	v_fma_f16 v22, v26, s7, v22
	v_fma_f16 v25, v27, s6, v25
	v_fma_f16 v27, v27, s6, v22
	v_add_f16_e32 v22, v5, v10
	v_fma_f16 v22, v22, -0.5, v6
	v_fma_f16 v28, v26, s12, v22
	v_sub_f16_e32 v29, v8, v5
	v_sub_f16_e32 v30, v1, v10
	v_fma_f16 v22, v26, s0, v22
	v_add_f16_e32 v29, v29, v30
	v_fma_f16 v22, v23, s7, v22
	v_lshrrev_b32_e32 v24, 16, v6
	v_fma_f16 v26, v29, s6, v22
	v_add_f16_sdwa v22, v8, v1 dst_sel:DWORD dst_unused:UNUSED_PAD src0_sel:WORD_1 src1_sel:WORD_1
	v_fma_f16 v28, v23, s1, v28
	v_fma_f16 v22, v22, -0.5, v24
	v_sub_f16_e32 v23, v5, v10
	v_fma_f16 v28, v29, s6, v28
	v_fma_f16 v29, v23, s12, v22
	v_sub_f16_e32 v30, v8, v1
	v_sub_f16_sdwa v31, v5, v8 dst_sel:DWORD dst_unused:UNUSED_PAD src0_sel:WORD_1 src1_sel:WORD_1
	v_sub_f16_sdwa v32, v10, v1 dst_sel:DWORD dst_unused:UNUSED_PAD src0_sel:WORD_1 src1_sel:WORD_1
	v_fma_f16 v22, v23, s0, v22
	v_fma_f16 v29, v30, s7, v29
	v_add_f16_e32 v31, v31, v32
	v_fma_f16 v22, v30, s1, v22
	v_fma_f16 v29, v31, s6, v29
	;; [unrolled: 1-line block ×3, first 2 shown]
	v_add_f16_sdwa v22, v5, v10 dst_sel:DWORD dst_unused:UNUSED_PAD src0_sel:WORD_1 src1_sel:WORD_1
	v_sub_f16_sdwa v32, v8, v5 dst_sel:DWORD dst_unused:UNUSED_PAD src0_sel:WORD_1 src1_sel:WORD_1
	v_add_f16_e32 v6, v6, v5
	v_add_f16_sdwa v5, v24, v5 dst_sel:DWORD dst_unused:UNUSED_PAD src0_sel:DWORD src1_sel:WORD_1
	v_add_f16_e32 v6, v6, v8
	v_add_f16_sdwa v5, v5, v8 dst_sel:DWORD dst_unused:UNUSED_PAD src0_sel:DWORD src1_sel:WORD_1
	v_fma_f16 v22, v22, -0.5, v24
	v_sub_f16_sdwa v33, v1, v10 dst_sel:DWORD dst_unused:UNUSED_PAD src0_sel:WORD_1 src1_sel:WORD_1
	v_add_f16_e32 v6, v6, v1
	v_add_f16_sdwa v1, v5, v1 dst_sel:DWORD dst_unused:UNUSED_PAD src0_sel:DWORD src1_sel:WORD_1
	v_add_f16_e32 v32, v32, v33
	v_fma_f16 v33, v30, s0, v22
	v_fma_f16 v22, v30, s12, v22
	v_add_f16_e32 v6, v6, v10
	v_add_f16_sdwa v1, v1, v10 dst_sel:DWORD dst_unused:UNUSED_PAD src0_sel:DWORD src1_sel:WORD_1
	v_mul_lo_u16_e32 v5, 5, v111
	v_fma_f16 v33, v23, s7, v33
	v_fma_f16 v30, v23, s1, v22
	v_pack_b32_f16 v25, v25, v29
	v_pack_b32_f16 v1, v6, v1
	v_lshlrev_b32_e32 v125, 2, v5
	ds_read2_b32 v[20:21], v99 offset0:62 offset1:187
	ds_read2_b32 v[2:3], v94 offset0:104 offset1:229
	;; [unrolled: 1-line block ×3, first 2 shown]
	v_fma_f16 v33, v32, s6, v33
	v_fma_f16 v30, v32, s6, v30
	ds_read_b32 v32, v81 offset:12000
	s_waitcnt lgkmcnt(0)
	s_barrier
	ds_write2_b32 v125, v1, v25 offset1:1
	v_add_f16_e32 v1, v9, v14
	v_sub_f16_e32 v8, v12, v9
	v_sub_f16_e32 v10, v11, v14
	v_fma_f16 v1, v1, -0.5, v7
	v_add_f16_e32 v8, v8, v10
	v_sub_f16_sdwa v10, v12, v11 dst_sel:DWORD dst_unused:UNUSED_PAD src0_sel:WORD_1 src1_sel:WORD_1
	v_fma_f16 v24, v10, s0, v1
	v_sub_f16_sdwa v25, v9, v14 dst_sel:DWORD dst_unused:UNUSED_PAD src0_sel:WORD_1 src1_sel:WORD_1
	v_fma_f16 v1, v10, s12, v1
	v_add_f16_e32 v5, v12, v11
	v_fma_f16 v24, v25, s1, v24
	v_fma_f16 v1, v25, s7, v1
	v_fma_f16 v5, v5, -0.5, v7
	v_fma_f16 v24, v8, s6, v24
	v_fma_f16 v1, v8, s6, v1
	v_sub_f16_e32 v8, v9, v12
	v_sub_f16_e32 v29, v14, v11
	v_add_f16_e32 v8, v8, v29
	v_fma_f16 v29, v25, s12, v5
	v_fma_f16 v5, v25, s0, v5
	;; [unrolled: 1-line block ×6, first 2 shown]
	v_sub_f16_sdwa v8, v12, v9 dst_sel:DWORD dst_unused:UNUSED_PAD src0_sel:WORD_1 src1_sel:WORD_1
	v_sub_f16_sdwa v25, v11, v14 dst_sel:DWORD dst_unused:UNUSED_PAD src0_sel:WORD_1 src1_sel:WORD_1
	v_lshrrev_b32_e32 v6, 16, v7
	v_add_f16_e32 v8, v8, v25
	v_add_f16_sdwa v25, v9, v14 dst_sel:DWORD dst_unused:UNUSED_PAD src0_sel:WORD_1 src1_sel:WORD_1
	v_fma_f16 v25, v25, -0.5, v6
	v_sub_f16_e32 v29, v12, v11
	v_fma_f16 v34, v29, s12, v25
	v_sub_f16_e32 v35, v9, v14
	v_fma_f16 v25, v29, s0, v25
	v_fma_f16 v34, v35, s7, v34
	;; [unrolled: 1-line block ×5, first 2 shown]
	v_add_f16_sdwa v25, v12, v11 dst_sel:DWORD dst_unused:UNUSED_PAD src0_sel:WORD_1 src1_sel:WORD_1
	v_add_f16_e32 v7, v7, v12
	v_fma_f16 v25, v25, -0.5, v6
	v_add_f16_sdwa v6, v6, v12 dst_sel:DWORD dst_unused:UNUSED_PAD src0_sel:DWORD src1_sel:WORD_1
	v_add_f16_e32 v7, v7, v9
	v_add_f16_sdwa v6, v6, v9 dst_sel:DWORD dst_unused:UNUSED_PAD src0_sel:DWORD src1_sel:WORD_1
	v_add_f16_e32 v7, v7, v14
	v_add_f16_sdwa v6, v6, v14 dst_sel:DWORD dst_unused:UNUSED_PAD src0_sel:DWORD src1_sel:WORD_1
	v_sub_f16_sdwa v9, v9, v12 dst_sel:DWORD dst_unused:UNUSED_PAD src0_sel:WORD_1 src1_sel:WORD_1
	v_add_f16_e32 v7, v7, v11
	v_add_f16_sdwa v6, v6, v11 dst_sel:DWORD dst_unused:UNUSED_PAD src0_sel:DWORD src1_sel:WORD_1
	v_sub_f16_sdwa v11, v14, v11 dst_sel:DWORD dst_unused:UNUSED_PAD src0_sel:WORD_1 src1_sel:WORD_1
	v_add_f16_e32 v9, v9, v11
	v_fma_f16 v11, v35, s0, v25
	v_fma_f16 v12, v35, s12, v25
	;; [unrolled: 1-line block ×6, first 2 shown]
	v_pack_b32_f16 v12, v26, v30
	v_pack_b32_f16 v14, v28, v33
	ds_write2_b32 v125, v14, v12 offset0:2 offset1:3
	v_sub_f16_e32 v12, v13, v18
	v_sub_f16_e32 v14, v20, v15
	v_add_f16_e32 v12, v12, v14
	v_add_f16_e32 v14, v18, v15
	v_fma_f16 v14, v14, -0.5, v16
	v_sub_f16_sdwa v25, v13, v20 dst_sel:DWORD dst_unused:UNUSED_PAD src0_sel:WORD_1 src1_sel:WORD_1
	v_fma_f16 v26, v25, s0, v14
	v_sub_f16_sdwa v28, v18, v15 dst_sel:DWORD dst_unused:UNUSED_PAD src0_sel:WORD_1 src1_sel:WORD_1
	v_fma_f16 v14, v25, s12, v14
	v_fma_f16 v26, v28, s1, v26
	;; [unrolled: 1-line block ×5, first 2 shown]
	v_sub_f16_e32 v14, v18, v13
	v_sub_f16_e32 v29, v15, v20
	v_add_f16_e32 v14, v14, v29
	v_add_f16_e32 v29, v13, v20
	v_fma_f16 v29, v29, -0.5, v16
	v_fma_f16 v30, v28, s12, v29
	v_fma_f16 v28, v28, s0, v29
	;; [unrolled: 1-line block ×4, first 2 shown]
	v_add_co_u32_e32 v28, vcc, s16, v111
	v_pack_b32_f16 v6, v7, v6
	v_mul_u32_u24_e32 v7, 5, v28
	v_fma_f16 v29, v14, s6, v29
	v_fma_f16 v14, v14, s6, v25
	v_pack_b32_f16 v25, v27, v31
	v_pack_b32_f16 v24, v24, v34
	v_lshlrev_b32_e32 v127, 2, v7
	ds_write_b32 v125, v25 offset:16
	ds_write2_b32 v127, v6, v24 offset1:1
	v_sub_f16_sdwa v6, v13, v18 dst_sel:DWORD dst_unused:UNUSED_PAD src0_sel:WORD_1 src1_sel:WORD_1
	v_sub_f16_sdwa v7, v20, v15 dst_sel:DWORD dst_unused:UNUSED_PAD src0_sel:WORD_1 src1_sel:WORD_1
	v_add_f16_e32 v6, v6, v7
	v_lshrrev_b32_e32 v7, 16, v16
	v_add_f16_sdwa v24, v18, v15 dst_sel:DWORD dst_unused:UNUSED_PAD src0_sel:WORD_1 src1_sel:WORD_1
	v_fma_f16 v24, v24, -0.5, v7
	v_sub_f16_e32 v25, v13, v20
	v_fma_f16 v27, v25, s12, v24
	v_sub_f16_e32 v30, v18, v15
	v_fma_f16 v24, v25, s0, v24
	v_fma_f16 v27, v30, s7, v27
	;; [unrolled: 1-line block ×5, first 2 shown]
	v_add_f16_sdwa v24, v13, v20 dst_sel:DWORD dst_unused:UNUSED_PAD src0_sel:WORD_1 src1_sel:WORD_1
	v_fma_f16 v24, v24, -0.5, v7
	v_add_f16_sdwa v7, v7, v13 dst_sel:DWORD dst_unused:UNUSED_PAD src0_sel:DWORD src1_sel:WORD_1
	v_add_f16_e32 v16, v16, v13
	v_add_f16_e32 v16, v16, v18
	v_add_f16_sdwa v7, v7, v18 dst_sel:DWORD dst_unused:UNUSED_PAD src0_sel:DWORD src1_sel:WORD_1
	v_sub_f16_sdwa v13, v18, v13 dst_sel:DWORD dst_unused:UNUSED_PAD src0_sel:WORD_1 src1_sel:WORD_1
	v_add_f16_e32 v16, v16, v15
	v_add_f16_sdwa v7, v7, v15 dst_sel:DWORD dst_unused:UNUSED_PAD src0_sel:DWORD src1_sel:WORD_1
	v_sub_f16_sdwa v15, v15, v20 dst_sel:DWORD dst_unused:UNUSED_PAD src0_sel:WORD_1 src1_sel:WORD_1
	v_add_f16_e32 v13, v13, v15
	v_fma_f16 v15, v30, s0, v24
	v_fma_f16 v18, v30, s12, v24
	;; [unrolled: 1-line block ×4, first 2 shown]
	v_pack_b32_f16 v5, v5, v9
	v_pack_b32_f16 v9, v10, v11
	v_fma_f16 v15, v13, s6, v15
	v_fma_f16 v13, v13, s6, v18
	v_add_f16_e32 v18, v19, v22
	ds_write2_b32 v127, v9, v5 offset0:2 offset1:3
	v_sub_f16_e32 v5, v2, v19
	v_sub_f16_e32 v9, v21, v22
	v_fma_f16 v18, v18, -0.5, v17
	v_add_f16_e32 v5, v5, v9
	v_sub_f16_sdwa v9, v2, v21 dst_sel:DWORD dst_unused:UNUSED_PAD src0_sel:WORD_1 src1_sel:WORD_1
	v_fma_f16 v10, v9, s0, v18
	v_sub_f16_sdwa v11, v19, v22 dst_sel:DWORD dst_unused:UNUSED_PAD src0_sel:WORD_1 src1_sel:WORD_1
	v_fma_f16 v18, v9, s12, v18
	v_add_f16_e32 v24, v2, v21
	v_fma_f16 v10, v11, s1, v10
	v_fma_f16 v18, v11, s7, v18
	v_fma_f16 v24, v24, -0.5, v17
	v_fma_f16 v10, v5, s6, v10
	v_fma_f16 v5, v5, s6, v18
	v_sub_f16_e32 v18, v19, v2
	v_sub_f16_e32 v30, v22, v21
	v_add_f16_e32 v18, v18, v30
	v_fma_f16 v30, v11, s12, v24
	v_fma_f16 v11, v11, s0, v24
	;; [unrolled: 1-line block ×6, first 2 shown]
	v_sub_f16_sdwa v18, v2, v19 dst_sel:DWORD dst_unused:UNUSED_PAD src0_sel:WORD_1 src1_sel:WORD_1
	v_sub_f16_sdwa v24, v21, v22 dst_sel:DWORD dst_unused:UNUSED_PAD src0_sel:WORD_1 src1_sel:WORD_1
	v_lshrrev_b32_e32 v25, 16, v17
	v_add_f16_e32 v18, v18, v24
	v_add_f16_sdwa v24, v19, v22 dst_sel:DWORD dst_unused:UNUSED_PAD src0_sel:WORD_1 src1_sel:WORD_1
	v_fma_f16 v24, v24, -0.5, v25
	v_sub_f16_e32 v30, v2, v21
	v_fma_f16 v31, v30, s12, v24
	v_sub_f16_e32 v33, v19, v22
	v_fma_f16 v24, v30, s0, v24
	v_fma_f16 v31, v33, s7, v31
	v_fma_f16 v24, v33, s1, v24
	v_fma_f16 v31, v18, s6, v31
	v_fma_f16 v18, v18, s6, v24
	v_add_f16_sdwa v24, v2, v21 dst_sel:DWORD dst_unused:UNUSED_PAD src0_sel:WORD_1 src1_sel:WORD_1
	v_add_f16_e32 v17, v17, v2
	v_fma_f16 v24, v24, -0.5, v25
	v_add_f16_sdwa v25, v25, v2 dst_sel:DWORD dst_unused:UNUSED_PAD src0_sel:DWORD src1_sel:WORD_1
	v_add_f16_e32 v17, v17, v19
	v_add_f16_sdwa v25, v25, v19 dst_sel:DWORD dst_unused:UNUSED_PAD src0_sel:DWORD src1_sel:WORD_1
	v_sub_f16_sdwa v2, v19, v2 dst_sel:DWORD dst_unused:UNUSED_PAD src0_sel:WORD_1 src1_sel:WORD_1
	v_add_f16_e32 v16, v16, v20
	v_add_f16_sdwa v7, v7, v20 dst_sel:DWORD dst_unused:UNUSED_PAD src0_sel:DWORD src1_sel:WORD_1
	v_add_f16_e32 v17, v17, v22
	v_add_f16_sdwa v19, v25, v22 dst_sel:DWORD dst_unused:UNUSED_PAD src0_sel:DWORD src1_sel:WORD_1
	v_sub_f16_sdwa v20, v22, v21 dst_sel:DWORD dst_unused:UNUSED_PAD src0_sel:WORD_1 src1_sel:WORD_1
	v_add_co_u32_e32 v64, vcc, s13, v111
	v_add_f16_e32 v17, v17, v21
	v_add_f16_sdwa v19, v19, v21 dst_sel:DWORD dst_unused:UNUSED_PAD src0_sel:DWORD src1_sel:WORD_1
	v_add_f16_e32 v2, v2, v20
	v_fma_f16 v20, v33, s0, v24
	v_fma_f16 v21, v33, s12, v24
	v_pack_b32_f16 v1, v1, v8
	v_mul_u32_u24_e32 v8, 5, v64
	v_fma_f16 v20, v30, s7, v20
	v_fma_f16 v21, v30, s1, v21
	ds_write_b32 v127, v1 offset:16
	v_pack_b32_f16 v1, v26, v27
	v_pack_b32_f16 v7, v16, v7
	v_lshlrev_b32_e32 v130, 2, v8
	v_fma_f16 v20, v2, s6, v20
	v_fma_f16 v2, v2, s6, v21
	v_add_f16_e32 v21, v0, v23
	ds_write2_b32 v130, v7, v1 offset1:1
	v_sub_f16_e32 v1, v3, v0
	v_sub_f16_e32 v7, v32, v23
	v_fma_f16 v21, v21, -0.5, v4
	v_add_f16_e32 v1, v1, v7
	v_sub_f16_sdwa v7, v3, v32 dst_sel:DWORD dst_unused:UNUSED_PAD src0_sel:WORD_1 src1_sel:WORD_1
	v_fma_f16 v8, v7, s0, v21
	v_sub_f16_sdwa v16, v0, v23 dst_sel:DWORD dst_unused:UNUSED_PAD src0_sel:WORD_1 src1_sel:WORD_1
	v_fma_f16 v21, v7, s12, v21
	v_add_f16_e32 v22, v3, v32
	v_fma_f16 v8, v16, s1, v8
	v_fma_f16 v21, v16, s7, v21
	v_fma_f16 v22, v22, -0.5, v4
	v_fma_f16 v8, v1, s6, v8
	v_fma_f16 v1, v1, s6, v21
	v_sub_f16_e32 v21, v0, v3
	v_sub_f16_e32 v25, v23, v32
	v_add_f16_e32 v21, v21, v25
	v_fma_f16 v25, v16, s12, v22
	v_fma_f16 v16, v16, s0, v22
	v_lshrrev_b32_e32 v24, 16, v4
	v_fma_f16 v22, v7, s1, v25
	v_fma_f16 v7, v7, s7, v16
	v_add_f16_e32 v4, v4, v3
	v_fma_f16 v16, v21, s6, v22
	v_fma_f16 v7, v21, s6, v7
	v_add_f16_sdwa v21, v24, v3 dst_sel:DWORD dst_unused:UNUSED_PAD src0_sel:DWORD src1_sel:WORD_1
	v_add_f16_e32 v4, v4, v0
	v_add_f16_sdwa v21, v21, v0 dst_sel:DWORD dst_unused:UNUSED_PAD src0_sel:DWORD src1_sel:WORD_1
	v_add_f16_sdwa v22, v0, v23 dst_sel:DWORD dst_unused:UNUSED_PAD src0_sel:WORD_1 src1_sel:WORD_1
	v_sub_f16_e32 v25, v0, v23
	v_sub_f16_sdwa v26, v3, v0 dst_sel:DWORD dst_unused:UNUSED_PAD src0_sel:WORD_1 src1_sel:WORD_1
	v_sub_f16_sdwa v0, v0, v3 dst_sel:DWORD dst_unused:UNUSED_PAD src0_sel:WORD_1 src1_sel:WORD_1
	v_sub_f16_e32 v27, v3, v32
	v_add_f16_sdwa v3, v3, v32 dst_sel:DWORD dst_unused:UNUSED_PAD src0_sel:WORD_1 src1_sel:WORD_1
	v_add_f16_e32 v4, v4, v23
	v_add_f16_sdwa v21, v21, v23 dst_sel:DWORD dst_unused:UNUSED_PAD src0_sel:DWORD src1_sel:WORD_1
	v_sub_f16_sdwa v30, v32, v23 dst_sel:DWORD dst_unused:UNUSED_PAD src0_sel:WORD_1 src1_sel:WORD_1
	v_sub_f16_sdwa v23, v23, v32 dst_sel:DWORD dst_unused:UNUSED_PAD src0_sel:WORD_1 src1_sel:WORD_1
	v_fma_f16 v3, v3, -0.5, v24
	v_add_f16_e32 v0, v0, v23
	v_fma_f16 v23, v25, s0, v3
	v_fma_f16 v3, v25, s12, v3
	;; [unrolled: 1-line block ×4, first 2 shown]
	s_movk_i32 s13, 0x177
	v_fma_f16 v23, v0, s6, v23
	v_fma_f16 v0, v0, s6, v3
	v_pack_b32_f16 v3, v14, v13
	v_pack_b32_f16 v13, v29, v15
	v_add_co_u32_e32 v68, vcc, s13, v111
	ds_write2_b32 v130, v13, v3 offset0:2 offset1:3
	v_pack_b32_f16 v3, v12, v6
	ds_write_b32 v130, v3 offset:16
	v_mul_u32_u24_e32 v3, 5, v68
	v_fma_f16 v22, v22, -0.5, v24
	v_lshlrev_b32_e32 v132, 2, v3
	v_pack_b32_f16 v3, v10, v31
	v_pack_b32_f16 v6, v17, v19
	v_add_f16_e32 v26, v26, v30
	v_fma_f16 v30, v27, s12, v22
	s_movk_i32 s13, 0x1f4
	ds_write2_b32 v132, v6, v3 offset1:1
	v_pack_b32_f16 v2, v9, v2
	v_pack_b32_f16 v3, v11, v20
	v_fma_f16 v30, v25, s7, v30
	v_add_co_u32_e32 v72, vcc, s13, v111
	ds_write2_b32 v132, v3, v2 offset0:2 offset1:3
	v_pack_b32_f16 v2, v5, v18
	v_add_f16_e32 v4, v4, v32
	v_add_f16_sdwa v21, v21, v32 dst_sel:DWORD dst_unused:UNUSED_PAD src0_sel:DWORD src1_sel:WORD_1
	v_fma_f16 v30, v26, s6, v30
	v_fma_f16 v22, v27, s0, v22
	ds_write_b32 v132, v2 offset:16
	v_mul_u32_u24_e32 v2, 5, v72
	v_fma_f16 v22, v25, s1, v22
	v_lshlrev_b32_e32 v129, 2, v2
	v_pack_b32_f16 v2, v8, v30
	v_pack_b32_f16 v3, v4, v21
	v_fma_f16 v22, v26, s6, v22
	ds_write2_b32 v129, v3, v2 offset1:1
	v_pack_b32_f16 v0, v7, v0
	v_pack_b32_f16 v2, v16, v23
	ds_write2_b32 v129, v2, v0 offset0:2 offset1:3
	v_pack_b32_f16 v0, v1, v22
	s_movk_i32 s13, 0xcd
	ds_write_b32 v129, v0 offset:16
	v_mul_lo_u16_sdwa v0, v111, s13 dst_sel:DWORD dst_unused:UNUSED_PAD src0_sel:BYTE_0 src1_sel:DWORD
	v_lshrrev_b16_e32 v18, 10, v0
	v_mul_lo_u16_e32 v0, 5, v18
	v_sub_u16_e32 v0, v111, v0
	v_and_b32_e32 v19, 0xff, v0
	v_lshlrev_b32_e32 v0, 4, v19
	s_waitcnt lgkmcnt(0)
	s_barrier
	global_load_dwordx4 v[0:3], v0, s[2:3]
	ds_read2_b32 v[8:9], v118 offset0:116 offset1:241
	ds_read2_b32 v[12:13], v117 offset0:98 offset1:223
	ds_read2_b32 v[10:11], v116 offset0:86 offset1:211
	v_mul_lo_u16_sdwa v4, v28, s13 dst_sel:DWORD dst_unused:UNUSED_PAD src0_sel:BYTE_0 src1_sel:DWORD
	v_lshrrev_b16_e32 v14, 10, v4
	s_waitcnt lgkmcnt(2)
	v_lshrrev_b32_e32 v16, 16, v9
	s_waitcnt lgkmcnt(1)
	v_lshrrev_b32_e32 v17, 16, v12
	;; [unrolled: 2-line block ×3, first 2 shown]
	v_mul_lo_u16_e32 v4, 5, v14
	v_sub_u16_e32 v4, v28, v4
	v_and_b32_e32 v15, 0xff, v4
	v_lshlrev_b32_e32 v4, 4, v15
	global_load_dwordx4 v[4:7], v4, s[2:3]
	v_mul_u32_u24_e32 v18, 25, v18
	v_add_lshl_u32 v126, v18, v19, 2
	s_mov_b32 s13, 0xcccd
	v_mul_u32_u24_e32 v14, 25, v14
	v_add_lshl_u32 v128, v14, v15, 2
	s_waitcnt vmcnt(1)
	v_mul_f16_sdwa v21, v16, v0 dst_sel:DWORD dst_unused:UNUSED_PAD src0_sel:DWORD src1_sel:WORD_1
	v_fma_f16 v35, v9, v0, -v21
	v_mul_f16_sdwa v9, v9, v0 dst_sel:DWORD dst_unused:UNUSED_PAD src0_sel:DWORD src1_sel:WORD_1
	v_fma_f16 v9, v16, v0, v9
	v_mul_f16_sdwa v16, v17, v1 dst_sel:DWORD dst_unused:UNUSED_PAD src0_sel:DWORD src1_sel:WORD_1
	v_fma_f16 v46, v12, v1, -v16
	v_mul_f16_sdwa v12, v12, v1 dst_sel:DWORD dst_unused:UNUSED_PAD src0_sel:DWORD src1_sel:WORD_1
	v_fma_f16 v47, v17, v1, v12
	ds_read2_b32 v[16:17], v115 offset0:68 offset1:193
	v_mul_f16_sdwa v12, v20, v2 dst_sel:DWORD dst_unused:UNUSED_PAD src0_sel:DWORD src1_sel:WORD_1
	v_fma_f16 v48, v11, v2, -v12
	v_mul_f16_sdwa v11, v11, v2 dst_sel:DWORD dst_unused:UNUSED_PAD src0_sel:DWORD src1_sel:WORD_1
	v_fma_f16 v49, v20, v2, v11
	s_waitcnt lgkmcnt(0)
	v_lshrrev_b32_e32 v11, 16, v16
	v_mul_f16_sdwa v12, v16, v3 dst_sel:DWORD dst_unused:UNUSED_PAD src0_sel:DWORD src1_sel:WORD_1
	v_fma_f16 v50, v11, v3, v12
	v_mul_f16_sdwa v11, v11, v3 dst_sel:DWORD dst_unused:UNUSED_PAD src0_sel:DWORD src1_sel:WORD_1
	v_fma_f16 v16, v16, v3, -v11
	v_sub_f16_e32 v11, v35, v46
	v_sub_f16_e32 v12, v16, v48
	v_add_f16_e32 v51, v11, v12
	ds_read2_b32 v[11:12], v81 offset1:125
	v_sub_f16_e32 v56, v9, v50
	v_sub_f16_e32 v59, v35, v16
	;; [unrolled: 1-line block ×4, first 2 shown]
	s_waitcnt lgkmcnt(0)
	v_lshrrev_b32_e32 v53, 16, v11
	v_add_f16_e32 v18, v11, v35
	v_add_f16_e32 v19, v53, v9
	;; [unrolled: 1-line block ×8, first 2 shown]
	v_pack_b32_f16 v54, v18, v19
	v_add_f16_e32 v18, v46, v48
	v_add_f16_e32 v19, v47, v49
	v_fma_f16 v55, v18, -0.5, v11
	v_fma_f16 v58, v19, -0.5, v53
	v_fma_f16 v18, v56, s0, v55
	v_sub_f16_e32 v57, v47, v49
	v_fma_f16 v19, v59, s12, v58
	v_sub_f16_e32 v60, v46, v48
	v_add_f16_e32 v52, v20, v21
	v_fma_f16 v18, v57, s1, v18
	v_fma_f16 v19, v60, s7, v19
	;; [unrolled: 1-line block ×4, first 2 shown]
	v_pack_b32_f16 v61, v18, v19
	v_mul_u32_u24_sdwa v18, v64, s13 dst_sel:DWORD dst_unused:UNUSED_PAD src0_sel:WORD_0 src1_sel:DWORD
	v_lshrrev_b32_e32 v62, 18, v18
	v_mul_lo_u16_e32 v18, 5, v62
	v_sub_u16_e32 v63, v64, v18
	v_lshlrev_b16_e32 v18, 2, v63
	v_lshlrev_b32_e32 v65, 2, v18
	v_mul_u32_u24_sdwa v18, v68, s13 dst_sel:DWORD dst_unused:UNUSED_PAD src0_sel:WORD_0 src1_sel:DWORD
	v_lshrrev_b32_e32 v66, 18, v18
	v_mul_lo_u16_e32 v18, 5, v66
	v_sub_u16_e32 v67, v68, v18
	v_lshlrev_b16_e32 v18, 2, v67
	v_lshlrev_b32_e32 v69, 2, v18
	;; [unrolled: 6-line block ×3, first 2 shown]
	ds_read_b32 v74, v81 offset:12000
	ds_read2_b32 v[18:19], v109 offset0:110 offset1:235
	ds_read2_b32 v[20:21], v107 offset0:80 offset1:205
	;; [unrolled: 1-line block ×7, first 2 shown]
	global_load_dwordx4 v[40:43], v65, s[2:3]
	global_load_dwordx4 v[36:39], v69, s[2:3]
	;; [unrolled: 1-line block ×3, first 2 shown]
	v_sub_f16_e32 v46, v46, v35
	v_add_f16_e32 v35, v35, v16
	v_fma_f16 v11, v35, -0.5, v11
	v_sub_f16_e32 v16, v48, v16
	v_fma_f16 v35, v57, s12, v11
	v_fma_f16 v11, v57, s0, v11
	v_add_f16_e32 v16, v46, v16
	v_fma_f16 v35, v56, s1, v35
	v_fma_f16 v11, v56, s7, v11
	;; [unrolled: 1-line block ×4, first 2 shown]
	v_add_f16_e32 v16, v9, v50
	v_fma_f16 v16, v16, -0.5, v53
	v_sub_f16_e32 v9, v47, v9
	v_sub_f16_e32 v46, v49, v50
	v_add_f16_e32 v9, v9, v46
	v_fma_f16 v46, v60, s0, v16
	v_fma_f16 v16, v60, s12, v16
	;; [unrolled: 1-line block ×6, first 2 shown]
	v_pack_b32_f16 v16, v35, v46
	v_pack_b32_f16 v9, v11, v9
	s_waitcnt vmcnt(0) lgkmcnt(0)
	s_barrier
	ds_write2_b32 v126, v16, v9 offset0:10 offset1:15
	v_lshrrev_b32_e32 v9, 16, v13
	v_mul_f16_sdwa v11, v9, v5 dst_sel:DWORD dst_unused:UNUSED_PAD src0_sel:DWORD src1_sel:WORD_1
	v_lshrrev_b32_e32 v46, 16, v18
	v_mul_f16_sdwa v47, v18, v4 dst_sel:DWORD dst_unused:UNUSED_PAD src0_sel:DWORD src1_sel:WORD_1
	v_fma_f16 v11, v13, v5, -v11
	v_mul_f16_sdwa v13, v13, v5 dst_sel:DWORD dst_unused:UNUSED_PAD src0_sel:DWORD src1_sel:WORD_1
	v_fma_f16 v47, v46, v4, v47
	v_mul_f16_sdwa v46, v46, v4 dst_sel:DWORD dst_unused:UNUSED_PAD src0_sel:DWORD src1_sel:WORD_1
	v_fma_f16 v9, v9, v5, v13
	v_lshrrev_b32_e32 v13, 16, v17
	v_fma_f16 v18, v18, v4, -v46
	v_lshrrev_b32_e32 v46, 16, v20
	v_mul_f16_sdwa v48, v20, v6 dst_sel:DWORD dst_unused:UNUSED_PAD src0_sel:DWORD src1_sel:WORD_1
	v_mul_f16_sdwa v16, v13, v7 dst_sel:DWORD dst_unused:UNUSED_PAD src0_sel:DWORD src1_sel:WORD_1
	v_fma_f16 v48, v46, v6, v48
	v_mul_f16_sdwa v46, v46, v6 dst_sel:DWORD dst_unused:UNUSED_PAD src0_sel:DWORD src1_sel:WORD_1
	v_fma_f16 v16, v17, v7, -v16
	v_fma_f16 v20, v20, v6, -v46
	v_mul_f16_sdwa v17, v17, v7 dst_sel:DWORD dst_unused:UNUSED_PAD src0_sel:DWORD src1_sel:WORD_1
	v_add_f16_e32 v46, v11, v20
	v_add_f16_e32 v49, v18, v16
	v_lshrrev_b32_e32 v50, 16, v12
	v_fma_f16 v13, v13, v7, v17
	v_fma_f16 v17, v56, s12, v55
	;; [unrolled: 1-line block ×3, first 2 shown]
	v_fma_f16 v46, v46, -0.5, v12
	v_fma_f16 v49, v49, -0.5, v12
	v_add_f16_e32 v12, v12, v18
	v_add_f16_e32 v14, v50, v47
	v_fma_f16 v17, v57, s7, v17
	v_fma_f16 v35, v60, s1, v35
	v_add_f16_e32 v12, v12, v11
	v_add_f16_e32 v14, v14, v9
	v_fma_f16 v17, v51, s6, v17
	v_fma_f16 v35, v52, s6, v35
	v_sub_f16_e32 v51, v18, v11
	v_sub_f16_e32 v52, v16, v20
	v_add_f16_e32 v12, v12, v20
	v_add_f16_e32 v14, v14, v48
	;; [unrolled: 1-line block ×3, first 2 shown]
	v_sub_f16_e32 v52, v47, v9
	v_sub_f16_e32 v53, v13, v48
	v_pack_b32_f16 v17, v17, v35
	v_add_f16_e32 v12, v12, v16
	v_add_f16_e32 v14, v14, v13
	;; [unrolled: 1-line block ×4, first 2 shown]
	v_pack_b32_f16 v12, v12, v14
	v_sub_f16_e32 v14, v47, v13
	v_fma_f16 v35, v35, -0.5, v50
	v_sub_f16_e32 v53, v18, v16
	ds_write2_b32 v126, v54, v61 offset1:5
	ds_write_b32 v126, v17 offset:80
	v_fma_f16 v15, v14, s0, v46
	v_sub_f16_e32 v17, v9, v48
	v_fma_f16 v54, v53, s12, v35
	v_sub_f16_e32 v55, v11, v20
	v_fma_f16 v15, v17, s1, v15
	v_fma_f16 v54, v55, s7, v54
	;; [unrolled: 1-line block ×4, first 2 shown]
	v_pack_b32_f16 v15, v15, v54
	ds_write2_b32 v128, v12, v15 offset1:5
	v_sub_f16_e32 v11, v11, v18
	v_sub_f16_e32 v12, v20, v16
	v_add_f16_e32 v11, v11, v12
	v_fma_f16 v12, v17, s12, v49
	v_fma_f16 v15, v17, s0, v49
	;; [unrolled: 1-line block ×6, first 2 shown]
	v_add_f16_e32 v15, v47, v13
	v_fma_f16 v15, v15, -0.5, v50
	v_sub_f16_e32 v9, v9, v47
	v_sub_f16_e32 v13, v48, v13
	v_add_f16_e32 v9, v9, v13
	v_fma_f16 v13, v55, s0, v15
	v_fma_f16 v15, v55, s12, v15
	;; [unrolled: 1-line block ×6, first 2 shown]
	v_pack_b32_f16 v12, v12, v13
	v_pack_b32_f16 v9, v11, v9
	ds_write2_b32 v128, v12, v9 offset0:10 offset1:15
	v_lshrrev_b32_e32 v9, 16, v19
	v_mul_f16_sdwa v11, v9, v40 dst_sel:DWORD dst_unused:UNUSED_PAD src0_sel:DWORD src1_sel:WORD_1
	v_mul_f16_sdwa v12, v19, v40 dst_sel:DWORD dst_unused:UNUSED_PAD src0_sel:DWORD src1_sel:WORD_1
	v_fma_f16 v14, v14, s12, v46
	v_fma_f16 v11, v19, v40, -v11
	v_fma_f16 v9, v9, v40, v12
	v_lshrrev_b32_e32 v12, 16, v21
	v_fma_f16 v14, v17, s7, v14
	v_lshrrev_b32_e32 v16, 16, v29
	v_mul_f16_sdwa v17, v29, v41 dst_sel:DWORD dst_unused:UNUSED_PAD src0_sel:DWORD src1_sel:WORD_1
	v_lshrrev_b32_e32 v18, 16, v31
	v_mul_f16_sdwa v19, v31, v43 dst_sel:DWORD dst_unused:UNUSED_PAD src0_sel:DWORD src1_sel:WORD_1
	v_mul_f16_sdwa v13, v12, v42 dst_sel:DWORD dst_unused:UNUSED_PAD src0_sel:DWORD src1_sel:WORD_1
	v_fma_f16 v17, v16, v41, v17
	v_mul_f16_sdwa v16, v16, v41 dst_sel:DWORD dst_unused:UNUSED_PAD src0_sel:DWORD src1_sel:WORD_1
	v_fma_f16 v19, v18, v43, v19
	v_mul_f16_sdwa v18, v18, v43 dst_sel:DWORD dst_unused:UNUSED_PAD src0_sel:DWORD src1_sel:WORD_1
	v_fma_f16 v13, v21, v42, -v13
	v_mul_f16_sdwa v15, v21, v42 dst_sel:DWORD dst_unused:UNUSED_PAD src0_sel:DWORD src1_sel:WORD_1
	v_fma_f16 v16, v29, v41, -v16
	v_fma_f16 v18, v31, v43, -v18
	v_fma_f16 v12, v12, v42, v15
	v_fma_f16 v15, v53, s0, v35
	v_sub_f16_e32 v20, v11, v16
	v_sub_f16_e32 v21, v18, v13
	v_fma_f16 v15, v55, s1, v15
	v_add_f16_e32 v20, v20, v21
	v_sub_f16_e32 v21, v9, v17
	v_sub_f16_e32 v29, v19, v12
	v_fma_f16 v14, v51, s6, v14
	v_fma_f16 v15, v52, s6, v15
	v_add_f16_e32 v21, v21, v29
	v_lshrrev_b32_e32 v29, 16, v22
	v_pack_b32_f16 v14, v14, v15
	v_add_f16_e32 v15, v22, v11
	v_add_f16_e32 v31, v29, v9
	;; [unrolled: 1-line block ×4, first 2 shown]
	ds_write_b32 v128, v14 offset:80
	v_mad_legacy_u16 v14, v62, 25, v63
	v_add_f16_e32 v15, v15, v13
	v_add_f16_e32 v31, v31, v12
	;; [unrolled: 1-line block ×4, first 2 shown]
	v_sub_f16_e32 v49, v11, v18
	v_lshlrev_b32_e32 v131, 2, v14
	v_sub_f16_e32 v14, v16, v11
	v_add_f16_e32 v11, v11, v18
	v_pack_b32_f16 v15, v15, v31
	v_add_f16_e32 v31, v16, v13
	v_sub_f16_e32 v47, v17, v12
	v_sub_f16_e32 v51, v16, v13
	;; [unrolled: 1-line block ×3, first 2 shown]
	v_fma_f16 v11, v11, -0.5, v22
	v_sub_f16_e32 v35, v9, v19
	v_add_f16_e32 v13, v14, v13
	v_fma_f16 v14, v47, s12, v11
	v_fma_f16 v11, v47, s0, v11
	;; [unrolled: 1-line block ×6, first 2 shown]
	v_add_f16_e32 v13, v9, v19
	v_add_f16_e32 v48, v17, v12
	v_fma_f16 v13, v13, -0.5, v29
	v_sub_f16_e32 v9, v17, v9
	v_sub_f16_e32 v12, v12, v19
	v_add_f16_e32 v9, v9, v12
	v_fma_f16 v12, v51, s0, v13
	v_fma_f16 v13, v51, s12, v13
	v_fma_f16 v31, v31, -0.5, v22
	v_fma_f16 v48, v48, -0.5, v29
	v_fma_f16 v12, v49, s7, v12
	v_fma_f16 v13, v49, s1, v13
	v_fma_f16 v46, v35, s0, v31
	v_fma_f16 v50, v49, s12, v48
	v_fma_f16 v12, v9, s6, v12
	v_fma_f16 v9, v9, s6, v13
	v_fma_f16 v46, v47, s1, v46
	v_fma_f16 v50, v51, s7, v50
	v_pack_b32_f16 v12, v14, v12
	v_pack_b32_f16 v9, v11, v9
	v_fma_f16 v46, v20, s6, v46
	v_fma_f16 v50, v21, s6, v50
	ds_write2_b32 v131, v12, v9 offset0:10 offset1:15
	v_lshrrev_b32_e32 v9, 16, v30
	v_mul_f16_sdwa v12, v30, v37 dst_sel:DWORD dst_unused:UNUSED_PAD src0_sel:DWORD src1_sel:WORD_1
	v_pack_b32_f16 v46, v46, v50
	v_mul_f16_sdwa v11, v9, v37 dst_sel:DWORD dst_unused:UNUSED_PAD src0_sel:DWORD src1_sel:WORD_1
	v_fma_f16 v9, v9, v37, v12
	v_lshrrev_b32_e32 v12, 16, v32
	v_mul_f16_sdwa v14, v32, v39 dst_sel:DWORD dst_unused:UNUSED_PAD src0_sel:DWORD src1_sel:WORD_1
	v_lshrrev_b32_e32 v16, 16, v33
	v_mul_f16_sdwa v17, v33, v36 dst_sel:DWORD dst_unused:UNUSED_PAD src0_sel:DWORD src1_sel:WORD_1
	;; [unrolled: 2-line block ×3, first 2 shown]
	ds_write2_b32 v131, v15, v46 offset1:5
	v_mul_f16_sdwa v13, v12, v39 dst_sel:DWORD dst_unused:UNUSED_PAD src0_sel:DWORD src1_sel:WORD_1
	v_fma_f16 v12, v12, v39, v14
	v_fma_f16 v14, v35, s12, v31
	;; [unrolled: 1-line block ×4, first 2 shown]
	v_mul_f16_sdwa v16, v16, v36 dst_sel:DWORD dst_unused:UNUSED_PAD src0_sel:DWORD src1_sel:WORD_1
	v_fma_f16 v19, v18, v38, v19
	v_mul_f16_sdwa v18, v18, v38 dst_sel:DWORD dst_unused:UNUSED_PAD src0_sel:DWORD src1_sel:WORD_1
	v_fma_f16 v11, v30, v37, -v11
	v_fma_f16 v13, v32, v39, -v13
	v_fma_f16 v14, v47, s7, v14
	v_fma_f16 v15, v51, s1, v15
	v_fma_f16 v16, v33, v36, -v16
	v_fma_f16 v18, v44, v38, -v18
	v_fma_f16 v14, v20, s6, v14
	v_fma_f16 v15, v21, s6, v15
	v_add_f16_e32 v20, v11, v18
	v_add_f16_e32 v21, v16, v13
	v_fma_f16 v20, v20, -0.5, v23
	v_fma_f16 v21, v21, -0.5, v23
	v_lshrrev_b32_e32 v22, 16, v23
	v_add_f16_e32 v23, v23, v16
	v_pack_b32_f16 v14, v14, v15
	v_add_f16_e32 v15, v23, v11
	v_add_f16_e32 v23, v22, v17
	;; [unrolled: 1-line block ×5, first 2 shown]
	v_sub_f16_e32 v29, v16, v11
	v_sub_f16_e32 v30, v13, v18
	ds_write_b32 v131, v14 offset:80
	v_mad_legacy_u16 v14, v66, 25, v67
	v_add_f16_e32 v15, v15, v13
	v_add_f16_e32 v23, v23, v12
	v_sub_f16_e32 v32, v9, v19
	v_sub_f16_e32 v35, v16, v13
	;; [unrolled: 1-line block ×5, first 2 shown]
	v_pack_b32_f16 v15, v15, v23
	v_sub_f16_e32 v23, v17, v12
	v_lshlrev_b32_e32 v133, 2, v14
	v_add_f16_e32 v11, v11, v13
	v_fma_f16 v13, v32, s12, v21
	v_fma_f16 v14, v32, s0, v21
	;; [unrolled: 1-line block ×6, first 2 shown]
	v_add_f16_e32 v14, v17, v12
	v_add_f16_e32 v29, v29, v30
	v_sub_f16_e32 v30, v17, v9
	v_sub_f16_e32 v31, v12, v19
	v_add_f16_e32 v33, v9, v19
	v_fma_f16 v14, v14, -0.5, v22
	v_sub_f16_e32 v9, v9, v17
	v_sub_f16_e32 v12, v19, v12
	v_add_f16_e32 v9, v9, v12
	v_fma_f16 v12, v46, s0, v14
	v_fma_f16 v14, v46, s12, v14
	v_fma_f16 v12, v35, s7, v12
	v_fma_f16 v14, v35, s1, v14
	v_fma_f16 v12, v9, s6, v12
	v_fma_f16 v9, v9, s6, v14
	v_fma_f16 v33, v33, -0.5, v22
	v_pack_b32_f16 v12, v13, v12
	v_pack_b32_f16 v9, v11, v9
	v_add_f16_e32 v30, v30, v31
	v_fma_f16 v31, v23, s0, v20
	v_fma_f16 v44, v35, s12, v33
	ds_write2_b32 v133, v12, v9 offset0:10 offset1:15
	v_lshrrev_b32_e32 v9, 16, v34
	v_mul_f16_sdwa v12, v34, v24 dst_sel:DWORD dst_unused:UNUSED_PAD src0_sel:DWORD src1_sel:WORD_1
	v_fma_f16 v31, v32, s1, v31
	v_fma_f16 v44, v46, s7, v44
	v_mul_f16_sdwa v11, v9, v24 dst_sel:DWORD dst_unused:UNUSED_PAD src0_sel:DWORD src1_sel:WORD_1
	v_fma_f16 v9, v9, v24, v12
	v_lshrrev_b32_e32 v12, 16, v10
	v_fma_f16 v31, v29, s6, v31
	v_fma_f16 v44, v30, s6, v44
	v_mul_f16_sdwa v13, v12, v25 dst_sel:DWORD dst_unused:UNUSED_PAD src0_sel:DWORD src1_sel:WORD_1
	v_pack_b32_f16 v31, v31, v44
	v_fma_f16 v13, v10, v25, -v13
	v_mul_f16_sdwa v10, v10, v25 dst_sel:DWORD dst_unused:UNUSED_PAD src0_sel:DWORD src1_sel:WORD_1
	ds_write2_b32 v133, v15, v31 offset1:5
	v_fma_f16 v10, v12, v25, v10
	v_lshrrev_b32_e32 v12, 16, v45
	v_mul_f16_sdwa v15, v45, v26 dst_sel:DWORD dst_unused:UNUSED_PAD src0_sel:DWORD src1_sel:WORD_1
	v_mul_f16_sdwa v14, v12, v26 dst_sel:DWORD dst_unused:UNUSED_PAD src0_sel:DWORD src1_sel:WORD_1
	v_fma_f16 v12, v12, v26, v15
	v_lshrrev_b32_e32 v15, 16, v74
	v_mul_f16_sdwa v17, v74, v27 dst_sel:DWORD dst_unused:UNUSED_PAD src0_sel:DWORD src1_sel:WORD_1
	v_mul_f16_sdwa v16, v15, v27 dst_sel:DWORD dst_unused:UNUSED_PAD src0_sel:DWORD src1_sel:WORD_1
	v_fma_f16 v15, v15, v27, v17
	v_fma_f16 v17, v23, s12, v20
	;; [unrolled: 1-line block ×3, first 2 shown]
	v_fma_f16 v11, v34, v24, -v11
	v_fma_f16 v14, v45, v26, -v14
	;; [unrolled: 1-line block ×3, first 2 shown]
	v_fma_f16 v17, v32, s7, v17
	v_fma_f16 v18, v46, s1, v18
	;; [unrolled: 1-line block ×4, first 2 shown]
	v_add_f16_e32 v19, v13, v14
	v_add_f16_e32 v20, v11, v16
	v_lshrrev_b32_e32 v21, 16, v8
	v_fma_f16 v19, v19, -0.5, v8
	v_fma_f16 v20, v20, -0.5, v8
	v_add_f16_e32 v8, v8, v11
	v_pack_b32_f16 v17, v17, v18
	v_add_f16_e32 v18, v21, v9
	v_add_f16_e32 v8, v8, v13
	;; [unrolled: 1-line block ×5, first 2 shown]
	v_sub_f16_e32 v22, v11, v13
	v_sub_f16_e32 v23, v16, v14
	v_add_f16_e32 v8, v8, v16
	v_add_f16_e32 v18, v18, v15
	;; [unrolled: 1-line block ×4, first 2 shown]
	v_sub_f16_e32 v23, v9, v10
	v_sub_f16_e32 v29, v15, v12
	v_pack_b32_f16 v8, v8, v18
	v_sub_f16_e32 v18, v9, v15
	v_fma_f16 v31, v31, -0.5, v21
	v_sub_f16_e32 v32, v11, v16
	v_add_f16_e32 v23, v23, v29
	v_fma_f16 v29, v18, s0, v19
	v_sub_f16_e32 v30, v10, v12
	v_fma_f16 v33, v32, s12, v31
	v_sub_f16_e32 v34, v13, v14
	v_fma_f16 v29, v30, s1, v29
	v_fma_f16 v33, v34, s7, v33
	ds_write_b32 v133, v17 offset:80
	v_mad_legacy_u16 v17, v70, 25, v71
	v_fma_f16 v29, v22, s6, v29
	v_fma_f16 v33, v23, s6, v33
	v_pack_b32_f16 v29, v29, v33
	v_lshlrev_b32_e32 v134, 2, v17
	ds_write2_b32 v134, v8, v29 offset1:5
	v_sub_f16_e32 v8, v13, v11
	v_sub_f16_e32 v11, v14, v16
	v_add_f16_e32 v8, v8, v11
	v_fma_f16 v11, v30, s12, v20
	v_fma_f16 v13, v30, s0, v20
	;; [unrolled: 1-line block ×6, first 2 shown]
	v_add_f16_e32 v13, v9, v15
	v_fma_f16 v13, v13, -0.5, v21
	v_sub_f16_e32 v9, v10, v9
	v_sub_f16_e32 v10, v12, v15
	v_add_f16_e32 v9, v9, v10
	v_fma_f16 v10, v34, s0, v13
	v_fma_f16 v12, v34, s12, v13
	v_fma_f16 v10, v32, s7, v10
	v_fma_f16 v12, v32, s1, v12
	v_fma_f16 v10, v9, s6, v10
	v_fma_f16 v9, v9, s6, v12
	v_pack_b32_f16 v10, v11, v10
	v_pack_b32_f16 v8, v8, v9
	ds_write2_b32 v134, v10, v8 offset0:10 offset1:15
	v_fma_f16 v8, v18, s12, v19
	v_fma_f16 v9, v32, s0, v31
	v_fma_f16 v8, v30, s7, v8
	v_fma_f16 v9, v34, s1, v9
	v_fma_f16 v8, v22, s6, v8
	v_fma_f16 v9, v23, s6, v9
	v_pack_b32_f16 v8, v8, v9
	v_mov_b32_e32 v12, 41
	ds_write_b32 v134, v8 offset:80
	v_mul_lo_u16_sdwa v8, v111, v12 dst_sel:DWORD dst_unused:UNUSED_PAD src0_sel:BYTE_0 src1_sel:DWORD
	v_lshrrev_b16_e32 v19, 10, v8
	v_mul_lo_u16_e32 v8, 25, v19
	v_sub_u16_e32 v8, v111, v8
	v_and_b32_e32 v33, 0xff, v8
	v_lshlrev_b32_e32 v8, 4, v33
	s_waitcnt lgkmcnt(0)
	s_barrier
	global_load_dwordx4 v[8:11], v8, s[2:3] offset:80
	s_movk_i32 s13, 0x47af
	v_mul_u32_u24_sdwa v13, v64, s13 dst_sel:DWORD dst_unused:UNUSED_PAD src0_sel:WORD_0 src1_sel:DWORD
	v_sub_u16_sdwa v14, v64, v13 dst_sel:DWORD dst_unused:UNUSED_PAD src0_sel:DWORD src1_sel:WORD_1
	v_lshrrev_b16_e32 v14, 1, v14
	v_add_u16_sdwa v34, v14, v13 dst_sel:DWORD dst_unused:UNUSED_PAD src0_sel:DWORD src1_sel:WORD_1
	v_mul_u32_u24_sdwa v13, v68, s13 dst_sel:DWORD dst_unused:UNUSED_PAD src0_sel:WORD_0 src1_sel:DWORD
	v_sub_u16_sdwa v14, v68, v13 dst_sel:DWORD dst_unused:UNUSED_PAD src0_sel:DWORD src1_sel:WORD_1
	v_lshrrev_b16_e32 v14, 1, v14
	v_add_u16_sdwa v35, v14, v13 dst_sel:DWORD dst_unused:UNUSED_PAD src0_sel:DWORD src1_sel:WORD_1
	v_mul_u32_u24_sdwa v13, v72, s13 dst_sel:DWORD dst_unused:UNUSED_PAD src0_sel:WORD_0 src1_sel:DWORD
	v_sub_u16_sdwa v14, v72, v13 dst_sel:DWORD dst_unused:UNUSED_PAD src0_sel:DWORD src1_sel:WORD_1
	v_lshrrev_b16_e32 v14, 1, v14
	v_add_u16_sdwa v46, v14, v13 dst_sel:DWORD dst_unused:UNUSED_PAD src0_sel:DWORD src1_sel:WORD_1
	v_mul_lo_u16_sdwa v14, v28, v12 dst_sel:DWORD dst_unused:UNUSED_PAD src0_sel:BYTE_0 src1_sel:DWORD
	v_lshrrev_b16_e32 v15, 10, v14
	v_mul_lo_u16_e32 v14, 25, v15
	v_sub_u16_e32 v14, v28, v14
	ds_read2_b32 v[12:13], v118 offset0:116 offset1:241
	v_and_b32_e32 v16, 0xff, v14
	v_lshlrev_b32_e32 v17, 4, v16
	global_load_dwordx4 v[20:23], v17, s[2:3] offset:80
	ds_read2_b32 v[17:18], v117 offset0:98 offset1:223
	s_waitcnt lgkmcnt(1)
	v_lshrrev_b32_e32 v14, 16, v13
	v_lshrrev_b16_e32 v145, 4, v34
	v_lshrrev_b16_e32 v35, 4, v35
	;; [unrolled: 1-line block ×3, first 2 shown]
	v_mul_lo_u16_e32 v46, 25, v148
	v_sub_u16_e32 v149, v72, v46
	v_lshlrev_b16_e32 v46, 4, v149
	v_mul_u32_u24_e32 v15, 0x7d, v15
	s_movk_i32 s13, 0x625
	v_lshlrev_b32_e32 v28, 4, v28
	s_waitcnt vmcnt(1)
	v_mul_f16_sdwa v29, v13, v8 dst_sel:DWORD dst_unused:UNUSED_PAD src0_sel:DWORD src1_sel:WORD_1
	v_fma_f16 v67, v14, v8, v29
	v_mul_f16_sdwa v14, v14, v8 dst_sel:DWORD dst_unused:UNUSED_PAD src0_sel:DWORD src1_sel:WORD_1
	v_fma_f16 v71, v13, v8, -v14
	s_waitcnt lgkmcnt(0)
	v_lshrrev_b32_e32 v29, 16, v17
	ds_read2_b32 v[13:14], v116 offset0:86 offset1:211
	v_mul_f16_sdwa v30, v17, v9 dst_sel:DWORD dst_unused:UNUSED_PAD src0_sel:DWORD src1_sel:WORD_1
	v_fma_f16 v75, v29, v9, v30
	v_mul_f16_sdwa v29, v29, v9 dst_sel:DWORD dst_unused:UNUSED_PAD src0_sel:DWORD src1_sel:WORD_1
	v_fma_f16 v17, v17, v9, -v29
	ds_read2_b32 v[29:30], v115 offset0:68 offset1:193
	s_waitcnt lgkmcnt(1)
	v_lshrrev_b32_e32 v31, 16, v14
	v_mul_f16_sdwa v32, v14, v10 dst_sel:DWORD dst_unused:UNUSED_PAD src0_sel:DWORD src1_sel:WORD_1
	v_fma_f16 v77, v31, v10, v32
	v_mul_f16_sdwa v31, v31, v10 dst_sel:DWORD dst_unused:UNUSED_PAD src0_sel:DWORD src1_sel:WORD_1
	v_fma_f16 v78, v14, v10, -v31
	s_waitcnt lgkmcnt(0)
	v_lshrrev_b32_e32 v14, 16, v29
	v_mul_f16_sdwa v31, v29, v11 dst_sel:DWORD dst_unused:UNUSED_PAD src0_sel:DWORD src1_sel:WORD_1
	v_fma_f16 v79, v14, v11, v31
	v_mul_f16_sdwa v14, v14, v11 dst_sel:DWORD dst_unused:UNUSED_PAD src0_sel:DWORD src1_sel:WORD_1
	v_fma_f16 v29, v29, v11, -v14
	v_sub_f16_e32 v14, v71, v17
	v_sub_f16_e32 v31, v29, v78
	v_add_f16_e32 v80, v14, v31
	ds_read2_b32 v[31:32], v81 offset1:125
	v_sub_f16_e32 v14, v67, v75
	v_sub_f16_e32 v44, v79, v77
	v_add_f16_e32 v136, v14, v44
	v_mul_u32_u24_e32 v14, 0x7d, v19
	s_waitcnt lgkmcnt(0)
	v_lshrrev_b32_e32 v19, 16, v31
	v_add_lshl_u32 v135, v14, v33, 2
	v_add_f16_e32 v14, v31, v71
	v_add_f16_e32 v33, v19, v67
	;; [unrolled: 1-line block ×8, first 2 shown]
	v_pack_b32_f16 v137, v14, v33
	v_add_f16_e32 v14, v17, v78
	v_add_f16_e32 v33, v75, v77
	v_fma_f16 v138, v14, -0.5, v31
	v_sub_f16_e32 v139, v67, v79
	v_fma_f16 v141, v33, -0.5, v19
	v_sub_f16_e32 v142, v71, v29
	v_fma_f16 v14, v139, s0, v138
	v_sub_f16_e32 v140, v75, v77
	v_fma_f16 v33, v142, s12, v141
	;; [unrolled: 2-line block ×3, first 2 shown]
	v_fma_f16 v33, v143, s7, v33
	v_fma_f16 v14, v80, s6, v14
	;; [unrolled: 1-line block ×3, first 2 shown]
	v_pack_b32_f16 v144, v14, v33
	v_mul_lo_u16_e32 v14, 25, v145
	v_sub_u16_e32 v146, v64, v14
	v_lshlrev_b16_e32 v33, 4, v146
	v_mul_lo_u16_e32 v44, 25, v35
	v_mov_b32_e32 v14, s3
	v_add_co_u32_e32 v33, vcc, s2, v33
	v_sub_u16_e32 v147, v68, v44
	v_addc_co_u32_e32 v34, vcc, 0, v14, vcc
	v_lshlrev_b16_e32 v44, 4, v147
	v_add_co_u32_e32 v44, vcc, s2, v44
	v_addc_co_u32_e32 v45, vcc, 0, v14, vcc
	v_add_co_u32_e32 v46, vcc, s2, v46
	v_addc_co_u32_e32 v47, vcc, 0, v14, vcc
	ds_read_b32 v150, v81 offset:12000
	ds_read2_b32 v[56:57], v109 offset0:110 offset1:235
	ds_read2_b32 v[58:59], v107 offset0:80 offset1:205
	;; [unrolled: 1-line block ×7, first 2 shown]
	global_load_dwordx4 v[52:55], v[33:34], off offset:80
	global_load_dwordx4 v[48:51], v[44:45], off offset:80
	s_nop 0
	global_load_dwordx4 v[44:47], v[46:47], off offset:80
	v_sub_f16_e32 v17, v17, v71
	v_add_f16_e32 v33, v71, v29
	v_sub_f16_e32 v29, v78, v29
	v_add_f16_e32 v17, v17, v29
	v_fma_f16 v29, v33, -0.5, v31
	v_fma_f16 v31, v140, s12, v29
	v_fma_f16 v29, v140, s0, v29
	v_fma_f16 v31, v139, s1, v31
	v_fma_f16 v29, v139, s7, v29
	v_fma_f16 v31, v17, s6, v31
	v_fma_f16 v17, v17, s6, v29
	v_add_f16_e32 v29, v67, v79
	v_fma_f16 v19, v29, -0.5, v19
	v_sub_f16_e32 v29, v75, v67
	v_sub_f16_e32 v33, v77, v79
	v_add_f16_e32 v29, v29, v33
	v_fma_f16 v33, v143, s0, v19
	v_fma_f16 v19, v143, s12, v19
	v_fma_f16 v33, v142, s7, v33
	v_fma_f16 v19, v142, s1, v19
	v_fma_f16 v33, v29, s6, v33
	v_fma_f16 v19, v29, s6, v19
	v_pack_b32_f16 v29, v31, v33
	v_pack_b32_f16 v17, v17, v19
	s_waitcnt vmcnt(0) lgkmcnt(0)
	s_barrier
	ds_write2_b32 v135, v29, v17 offset0:50 offset1:75
	v_lshrrev_b32_e32 v17, 16, v18
	v_mul_f16_sdwa v19, v17, v21 dst_sel:DWORD dst_unused:UNUSED_PAD src0_sel:DWORD src1_sel:WORD_1
	v_lshrrev_b32_e32 v33, 16, v56
	v_mul_f16_sdwa v34, v56, v20 dst_sel:DWORD dst_unused:UNUSED_PAD src0_sel:DWORD src1_sel:WORD_1
	v_fma_f16 v19, v18, v21, -v19
	v_mul_f16_sdwa v18, v18, v21 dst_sel:DWORD dst_unused:UNUSED_PAD src0_sel:DWORD src1_sel:WORD_1
	v_fma_f16 v34, v33, v20, v34
	v_mul_f16_sdwa v33, v33, v20 dst_sel:DWORD dst_unused:UNUSED_PAD src0_sel:DWORD src1_sel:WORD_1
	v_fma_f16 v17, v17, v21, v18
	v_lshrrev_b32_e32 v18, 16, v30
	v_fma_f16 v33, v56, v20, -v33
	v_lshrrev_b32_e32 v56, 16, v58
	v_mul_f16_sdwa v67, v58, v22 dst_sel:DWORD dst_unused:UNUSED_PAD src0_sel:DWORD src1_sel:WORD_1
	v_mul_f16_sdwa v29, v18, v23 dst_sel:DWORD dst_unused:UNUSED_PAD src0_sel:DWORD src1_sel:WORD_1
	v_fma_f16 v67, v56, v22, v67
	v_mul_f16_sdwa v56, v56, v22 dst_sel:DWORD dst_unused:UNUSED_PAD src0_sel:DWORD src1_sel:WORD_1
	v_fma_f16 v29, v30, v23, -v29
	v_fma_f16 v31, v142, s0, v141
	v_fma_f16 v56, v58, v22, -v56
	v_fma_f16 v31, v143, s1, v31
	v_add_f16_e32 v58, v19, v56
	v_add_f16_e32 v71, v33, v29
	v_lshrrev_b32_e32 v75, 16, v32
	v_mul_f16_sdwa v30, v30, v23 dst_sel:DWORD dst_unused:UNUSED_PAD src0_sel:DWORD src1_sel:WORD_1
	v_fma_f16 v31, v136, s6, v31
	v_fma_f16 v58, v58, -0.5, v32
	v_fma_f16 v71, v71, -0.5, v32
	v_add_f16_e32 v32, v32, v33
	v_add_lshl_u32 v136, v15, v16, 2
	v_add_f16_e32 v16, v75, v34
	v_fma_f16 v18, v18, v23, v30
	v_fma_f16 v30, v139, s12, v138
	v_add_f16_e32 v15, v32, v19
	v_add_f16_e32 v16, v16, v17
	v_fma_f16 v30, v140, s7, v30
	v_sub_f16_e32 v77, v33, v19
	v_sub_f16_e32 v78, v29, v56
	v_add_f16_e32 v15, v15, v56
	v_add_f16_e32 v16, v16, v67
	v_fma_f16 v30, v80, s6, v30
	v_add_f16_e32 v77, v77, v78
	v_sub_f16_e32 v78, v34, v17
	v_sub_f16_e32 v79, v18, v67
	v_add_f16_e32 v15, v15, v29
	v_add_f16_e32 v16, v16, v18
	;; [unrolled: 1-line block ×4, first 2 shown]
	v_pack_b32_f16 v30, v30, v31
	v_pack_b32_f16 v15, v15, v16
	v_sub_f16_e32 v16, v34, v18
	v_fma_f16 v32, v32, -0.5, v75
	v_sub_f16_e32 v79, v33, v29
	ds_write2_b32 v135, v137, v144 offset1:25
	ds_write_b32 v135, v30 offset:400
	v_fma_f16 v30, v16, s0, v58
	v_sub_f16_e32 v31, v17, v67
	v_fma_f16 v80, v79, s12, v32
	v_sub_f16_e32 v137, v19, v56
	v_fma_f16 v30, v31, s1, v30
	v_fma_f16 v80, v137, s7, v80
	;; [unrolled: 1-line block ×4, first 2 shown]
	v_pack_b32_f16 v30, v30, v80
	ds_write2_b32 v136, v15, v30 offset1:25
	v_sub_f16_e32 v15, v19, v33
	v_sub_f16_e32 v19, v56, v29
	v_add_f16_e32 v15, v15, v19
	v_fma_f16 v19, v31, s12, v71
	v_fma_f16 v29, v31, s0, v71
	;; [unrolled: 1-line block ×6, first 2 shown]
	v_add_f16_e32 v29, v34, v18
	v_fma_f16 v29, v29, -0.5, v75
	v_sub_f16_e32 v17, v17, v34
	v_sub_f16_e32 v18, v67, v18
	v_add_f16_e32 v17, v17, v18
	v_fma_f16 v18, v137, s0, v29
	v_fma_f16 v29, v137, s12, v29
	;; [unrolled: 1-line block ×6, first 2 shown]
	v_pack_b32_f16 v18, v19, v18
	v_pack_b32_f16 v15, v15, v17
	ds_write2_b32 v136, v18, v15 offset0:50 offset1:75
	v_lshrrev_b32_e32 v15, 16, v57
	v_mul_f16_sdwa v18, v57, v52 dst_sel:DWORD dst_unused:UNUSED_PAD src0_sel:DWORD src1_sel:WORD_1
	v_mul_f16_sdwa v17, v15, v52 dst_sel:DWORD dst_unused:UNUSED_PAD src0_sel:DWORD src1_sel:WORD_1
	v_fma_f16 v15, v15, v52, v18
	v_lshrrev_b32_e32 v18, 16, v59
	v_mul_f16_sdwa v29, v59, v54 dst_sel:DWORD dst_unused:UNUSED_PAD src0_sel:DWORD src1_sel:WORD_1
	v_fma_f16 v16, v16, s12, v58
	v_mul_f16_sdwa v19, v18, v54 dst_sel:DWORD dst_unused:UNUSED_PAD src0_sel:DWORD src1_sel:WORD_1
	v_fma_f16 v18, v18, v54, v29
	v_fma_f16 v16, v31, s7, v16
	;; [unrolled: 1-line block ×3, first 2 shown]
	v_lshrrev_b32_e32 v30, 16, v62
	v_mul_f16_sdwa v31, v62, v53 dst_sel:DWORD dst_unused:UNUSED_PAD src0_sel:DWORD src1_sel:WORD_1
	v_lshrrev_b32_e32 v32, 16, v65
	v_mul_f16_sdwa v33, v65, v55 dst_sel:DWORD dst_unused:UNUSED_PAD src0_sel:DWORD src1_sel:WORD_1
	v_fma_f16 v31, v30, v53, v31
	v_mul_f16_sdwa v30, v30, v53 dst_sel:DWORD dst_unused:UNUSED_PAD src0_sel:DWORD src1_sel:WORD_1
	v_fma_f16 v33, v32, v55, v33
	v_mul_f16_sdwa v32, v32, v55 dst_sel:DWORD dst_unused:UNUSED_PAD src0_sel:DWORD src1_sel:WORD_1
	v_fma_f16 v17, v57, v52, -v17
	v_fma_f16 v19, v59, v54, -v19
	;; [unrolled: 1-line block ×4, first 2 shown]
	v_sub_f16_e32 v34, v17, v30
	v_sub_f16_e32 v56, v32, v19
	v_fma_f16 v29, v137, s1, v29
	v_add_f16_e32 v34, v34, v56
	v_sub_f16_e32 v56, v15, v31
	v_sub_f16_e32 v57, v33, v18
	v_fma_f16 v16, v77, s6, v16
	v_fma_f16 v29, v78, s6, v29
	v_add_f16_e32 v56, v56, v57
	v_lshrrev_b32_e32 v57, 16, v60
	v_pack_b32_f16 v16, v16, v29
	v_add_f16_e32 v29, v60, v17
	v_add_f16_e32 v58, v57, v15
	;; [unrolled: 1-line block ×4, first 2 shown]
	ds_write_b32 v136, v16 offset:400
	v_mad_legacy_u16 v16, v145, s16, v146
	v_add_f16_e32 v29, v29, v19
	v_add_f16_e32 v58, v58, v18
	;; [unrolled: 1-line block ×4, first 2 shown]
	v_sub_f16_e32 v71, v17, v32
	v_lshlrev_b32_e32 v138, 2, v16
	v_sub_f16_e32 v16, v30, v17
	v_add_f16_e32 v17, v17, v32
	v_pack_b32_f16 v29, v29, v58
	v_add_f16_e32 v58, v30, v19
	v_sub_f16_e32 v65, v31, v18
	v_sub_f16_e32 v77, v30, v19
	;; [unrolled: 1-line block ×3, first 2 shown]
	v_fma_f16 v17, v17, -0.5, v60
	v_sub_f16_e32 v59, v15, v33
	v_add_f16_e32 v16, v16, v19
	v_fma_f16 v19, v65, s12, v17
	v_fma_f16 v17, v65, s0, v17
	;; [unrolled: 1-line block ×6, first 2 shown]
	v_add_f16_e32 v17, v15, v33
	v_add_f16_e32 v67, v31, v18
	v_fma_f16 v17, v17, -0.5, v57
	v_sub_f16_e32 v15, v31, v15
	v_sub_f16_e32 v18, v18, v33
	v_add_f16_e32 v15, v15, v18
	v_fma_f16 v18, v77, s0, v17
	v_fma_f16 v17, v77, s12, v17
	v_fma_f16 v58, v58, -0.5, v60
	v_fma_f16 v67, v67, -0.5, v57
	v_fma_f16 v18, v71, s7, v18
	v_fma_f16 v17, v71, s1, v17
	;; [unrolled: 1-line block ×8, first 2 shown]
	v_pack_b32_f16 v17, v19, v18
	v_pack_b32_f16 v15, v16, v15
	v_fma_f16 v62, v34, s6, v62
	v_fma_f16 v75, v56, s6, v75
	ds_write2_b32 v138, v17, v15 offset0:50 offset1:75
	v_lshrrev_b32_e32 v15, 16, v63
	v_mul_f16_sdwa v17, v63, v49 dst_sel:DWORD dst_unused:UNUSED_PAD src0_sel:DWORD src1_sel:WORD_1
	v_pack_b32_f16 v62, v62, v75
	v_mul_f16_sdwa v16, v15, v49 dst_sel:DWORD dst_unused:UNUSED_PAD src0_sel:DWORD src1_sel:WORD_1
	v_fma_f16 v15, v15, v49, v17
	v_lshrrev_b32_e32 v17, 16, v66
	v_mul_f16_sdwa v19, v66, v51 dst_sel:DWORD dst_unused:UNUSED_PAD src0_sel:DWORD src1_sel:WORD_1
	ds_write2_b32 v138, v29, v62 offset1:25
	v_mul_f16_sdwa v18, v17, v51 dst_sel:DWORD dst_unused:UNUSED_PAD src0_sel:DWORD src1_sel:WORD_1
	v_fma_f16 v17, v17, v51, v19
	v_fma_f16 v19, v59, s12, v58
	;; [unrolled: 1-line block ×5, first 2 shown]
	v_lshrrev_b32_e32 v30, 16, v69
	v_mul_f16_sdwa v31, v69, v48 dst_sel:DWORD dst_unused:UNUSED_PAD src0_sel:DWORD src1_sel:WORD_1
	v_fma_f16 v19, v34, s6, v19
	v_fma_f16 v29, v56, s6, v29
	;; [unrolled: 1-line block ×3, first 2 shown]
	v_mul_f16_sdwa v30, v30, v48 dst_sel:DWORD dst_unused:UNUSED_PAD src0_sel:DWORD src1_sel:WORD_1
	v_lshrrev_b32_e32 v32, 16, v73
	v_mul_f16_sdwa v33, v73, v50 dst_sel:DWORD dst_unused:UNUSED_PAD src0_sel:DWORD src1_sel:WORD_1
	v_fma_f16 v30, v69, v48, -v30
	v_fma_f16 v33, v32, v50, v33
	v_mul_f16_sdwa v32, v32, v50 dst_sel:DWORD dst_unused:UNUSED_PAD src0_sel:DWORD src1_sel:WORD_1
	v_lshrrev_b32_e32 v57, 16, v61
	v_pack_b32_f16 v19, v19, v29
	v_fma_f16 v16, v63, v49, -v16
	v_fma_f16 v18, v66, v51, -v18
	v_fma_f16 v32, v73, v50, -v32
	v_add_f16_e32 v58, v61, v30
	ds_write_b32 v138, v19 offset:400
	v_mad_legacy_u16 v19, v35, s16, v147
	v_add_f16_e32 v35, v57, v31
	v_add_f16_e32 v34, v16, v32
	;; [unrolled: 1-line block ×3, first 2 shown]
	v_sub_f16_e32 v59, v30, v16
	v_sub_f16_e32 v60, v18, v32
	v_add_f16_e32 v29, v58, v16
	v_add_f16_e32 v35, v35, v15
	v_fma_f16 v34, v34, -0.5, v61
	v_fma_f16 v56, v56, -0.5, v61
	v_add_f16_e32 v59, v59, v60
	v_sub_f16_e32 v60, v31, v15
	v_sub_f16_e32 v61, v17, v33
	v_add_f16_e32 v29, v29, v32
	v_add_f16_e32 v35, v35, v33
	;; [unrolled: 1-line block ×5, first 2 shown]
	v_sub_f16_e32 v61, v15, v33
	v_sub_f16_e32 v63, v30, v18
	;; [unrolled: 1-line block ×5, first 2 shown]
	v_pack_b32_f16 v29, v29, v35
	v_sub_f16_e32 v35, v31, v17
	v_lshlrev_b32_e32 v140, 2, v19
	v_add_f16_e32 v16, v16, v18
	v_fma_f16 v18, v61, s12, v56
	v_fma_f16 v19, v61, s0, v56
	;; [unrolled: 1-line block ×6, first 2 shown]
	v_add_f16_e32 v19, v31, v17
	v_add_f16_e32 v62, v15, v33
	v_fma_f16 v19, v19, -0.5, v57
	v_sub_f16_e32 v15, v15, v31
	v_sub_f16_e32 v17, v33, v17
	v_add_f16_e32 v15, v15, v17
	v_fma_f16 v17, v66, s0, v19
	v_fma_f16 v19, v66, s12, v19
	;; [unrolled: 1-line block ×6, first 2 shown]
	v_fma_f16 v62, v62, -0.5, v57
	v_pack_b32_f16 v17, v18, v17
	v_pack_b32_f16 v15, v16, v15
	v_fma_f16 v58, v35, s0, v34
	v_fma_f16 v65, v63, s12, v62
	ds_write2_b32 v140, v17, v15 offset0:50 offset1:75
	v_lshrrev_b32_e32 v15, 16, v70
	v_mul_f16_sdwa v17, v70, v44 dst_sel:DWORD dst_unused:UNUSED_PAD src0_sel:DWORD src1_sel:WORD_1
	v_fma_f16 v58, v61, s1, v58
	v_fma_f16 v65, v66, s7, v65
	v_mul_f16_sdwa v16, v15, v44 dst_sel:DWORD dst_unused:UNUSED_PAD src0_sel:DWORD src1_sel:WORD_1
	v_fma_f16 v15, v15, v44, v17
	v_lshrrev_b32_e32 v17, 16, v13
	v_fma_f16 v58, v59, s6, v58
	v_fma_f16 v65, v60, s6, v65
	v_mul_f16_sdwa v18, v17, v45 dst_sel:DWORD dst_unused:UNUSED_PAD src0_sel:DWORD src1_sel:WORD_1
	v_pack_b32_f16 v58, v58, v65
	v_fma_f16 v18, v13, v45, -v18
	v_mul_f16_sdwa v13, v13, v45 dst_sel:DWORD dst_unused:UNUSED_PAD src0_sel:DWORD src1_sel:WORD_1
	ds_write2_b32 v140, v29, v58 offset1:25
	v_fma_f16 v13, v17, v45, v13
	v_lshrrev_b32_e32 v17, 16, v74
	v_mul_f16_sdwa v29, v74, v46 dst_sel:DWORD dst_unused:UNUSED_PAD src0_sel:DWORD src1_sel:WORD_1
	v_mul_f16_sdwa v19, v17, v46 dst_sel:DWORD dst_unused:UNUSED_PAD src0_sel:DWORD src1_sel:WORD_1
	v_fma_f16 v17, v17, v46, v29
	v_lshrrev_b32_e32 v29, 16, v150
	v_mul_f16_sdwa v31, v150, v47 dst_sel:DWORD dst_unused:UNUSED_PAD src0_sel:DWORD src1_sel:WORD_1
	v_mul_f16_sdwa v30, v29, v47 dst_sel:DWORD dst_unused:UNUSED_PAD src0_sel:DWORD src1_sel:WORD_1
	v_fma_f16 v29, v29, v47, v31
	v_fma_f16 v31, v35, s12, v34
	v_fma_f16 v32, v63, s0, v62
	v_fma_f16 v16, v70, v44, -v16
	v_fma_f16 v19, v74, v46, -v19
	;; [unrolled: 1-line block ×3, first 2 shown]
	v_fma_f16 v31, v61, s7, v31
	v_fma_f16 v32, v66, s1, v32
	;; [unrolled: 1-line block ×4, first 2 shown]
	v_add_f16_e32 v33, v18, v19
	v_add_f16_e32 v34, v16, v30
	v_lshrrev_b32_e32 v35, 16, v12
	v_fma_f16 v33, v33, -0.5, v12
	v_fma_f16 v34, v34, -0.5, v12
	v_add_f16_e32 v12, v12, v16
	v_pack_b32_f16 v31, v31, v32
	v_add_f16_e32 v32, v35, v15
	v_add_f16_e32 v12, v12, v18
	;; [unrolled: 1-line block ×5, first 2 shown]
	v_sub_f16_e32 v56, v16, v18
	v_sub_f16_e32 v57, v30, v19
	v_add_f16_e32 v12, v12, v30
	v_add_f16_e32 v32, v32, v29
	;; [unrolled: 1-line block ×4, first 2 shown]
	v_sub_f16_e32 v57, v15, v13
	v_sub_f16_e32 v58, v29, v17
	v_pack_b32_f16 v12, v12, v32
	v_sub_f16_e32 v32, v15, v29
	v_fma_f16 v60, v60, -0.5, v35
	v_sub_f16_e32 v61, v16, v30
	v_add_f16_e32 v57, v57, v58
	v_fma_f16 v58, v32, s0, v33
	v_sub_f16_e32 v59, v13, v17
	v_fma_f16 v62, v61, s12, v60
	v_sub_f16_e32 v63, v18, v19
	v_fma_f16 v58, v59, s1, v58
	v_fma_f16 v62, v63, s7, v62
	ds_write_b32 v140, v31 offset:400
	v_mad_legacy_u16 v31, v148, s16, v149
	v_fma_f16 v58, v56, s6, v58
	v_fma_f16 v62, v57, s6, v62
	v_pack_b32_f16 v58, v58, v62
	v_lshlrev_b32_e32 v141, 2, v31
	ds_write2_b32 v141, v12, v58 offset1:25
	v_sub_f16_e32 v12, v18, v16
	v_sub_f16_e32 v16, v19, v30
	v_add_f16_e32 v12, v12, v16
	v_fma_f16 v16, v59, s12, v34
	v_fma_f16 v18, v59, s0, v34
	;; [unrolled: 1-line block ×6, first 2 shown]
	v_add_f16_e32 v18, v15, v29
	v_fma_f16 v18, v18, -0.5, v35
	v_sub_f16_e32 v13, v13, v15
	v_sub_f16_e32 v15, v17, v29
	v_add_f16_e32 v13, v13, v15
	v_fma_f16 v15, v63, s0, v18
	v_fma_f16 v17, v63, s12, v18
	;; [unrolled: 1-line block ×6, first 2 shown]
	v_pack_b32_f16 v15, v16, v15
	v_pack_b32_f16 v12, v12, v13
	ds_write2_b32 v141, v15, v12 offset0:50 offset1:75
	v_fma_f16 v12, v32, s12, v33
	v_fma_f16 v13, v61, s0, v60
	;; [unrolled: 1-line block ×6, first 2 shown]
	v_pack_b32_f16 v12, v12, v13
	v_lshlrev_b32_e32 v15, 4, v111
	ds_write_b32 v141, v12 offset:400
	s_waitcnt lgkmcnt(0)
	s_barrier
	global_load_dwordx4 v[16:19], v15, s[2:3] offset:480
	v_mul_u32_u24_sdwa v12, v64, s13 dst_sel:DWORD dst_unused:UNUSED_PAD src0_sel:WORD_0 src1_sel:DWORD
	v_sub_u16_sdwa v13, v64, v12 dst_sel:DWORD dst_unused:UNUSED_PAD src0_sel:DWORD src1_sel:WORD_1
	v_lshrrev_b16_e32 v13, 1, v13
	v_add_u16_sdwa v12, v13, v12 dst_sel:DWORD dst_unused:UNUSED_PAD src0_sel:DWORD src1_sel:WORD_1
	v_lshrrev_b16_e32 v12, 6, v12
	v_mul_lo_u16_e32 v12, 0x7d, v12
	v_sub_u16_e32 v31, v64, v12
	v_lshlrev_b16_e32 v12, 4, v31
	v_add_co_u32_e32 v12, vcc, s2, v12
	v_addc_co_u32_e32 v13, vcc, 0, v14, vcc
	global_load_dwordx4 v[32:35], v[12:13], off offset:480
	v_mul_u32_u24_sdwa v12, v68, s13 dst_sel:DWORD dst_unused:UNUSED_PAD src0_sel:WORD_0 src1_sel:DWORD
	v_sub_u16_sdwa v13, v68, v12 dst_sel:DWORD dst_unused:UNUSED_PAD src0_sel:DWORD src1_sel:WORD_1
	v_lshrrev_b16_e32 v13, 1, v13
	v_add_u16_sdwa v12, v13, v12 dst_sel:DWORD dst_unused:UNUSED_PAD src0_sel:DWORD src1_sel:WORD_1
	v_mul_u32_u24_sdwa v13, v72, s13 dst_sel:DWORD dst_unused:UNUSED_PAD src0_sel:WORD_0 src1_sel:DWORD
	v_lshrrev_b16_e32 v12, 6, v12
	v_sub_u16_sdwa v29, v72, v13 dst_sel:DWORD dst_unused:UNUSED_PAD src0_sel:DWORD src1_sel:WORD_1
	v_mul_lo_u16_e32 v12, 0x7d, v12
	v_lshrrev_b16_e32 v29, 1, v29
	v_sub_u16_e32 v30, v68, v12
	v_add_u16_sdwa v13, v29, v13 dst_sel:DWORD dst_unused:UNUSED_PAD src0_sel:DWORD src1_sel:WORD_1
	v_lshlrev_b16_e32 v12, 4, v30
	v_add_co_u32_e32 v56, vcc, s2, v12
	v_lshrrev_b16_e32 v12, 6, v13
	v_mul_lo_u16_e32 v12, 0x7d, v12
	v_sub_u16_e32 v29, v72, v12
	ds_read2_b32 v[12:13], v118 offset0:116 offset1:241
	v_addc_co_u32_e32 v57, vcc, 0, v14, vcc
	v_lshlrev_b16_e32 v58, 4, v29
	v_add_co_u32_e32 v58, vcc, s2, v58
	v_addc_co_u32_e32 v59, vcc, 0, v14, vcc
	s_waitcnt lgkmcnt(0)
	v_lshrrev_b32_e32 v14, 16, v13
	ds_read2_b32 v[65:66], v117 offset0:98 offset1:223
	ds_read2_b32 v[69:70], v115 offset0:68 offset1:193
	ds_read2_b32 v[73:74], v81 offset1:125
	v_lshlrev_b32_e32 v64, 4, v64
	v_lshlrev_b32_e32 v68, 4, v68
	;; [unrolled: 1-line block ×3, first 2 shown]
	s_waitcnt lgkmcnt(0)
	v_lshrrev_b32_e32 v154, 16, v73
	s_waitcnt vmcnt(1)
	v_mul_f16_sdwa v60, v13, v16 dst_sel:DWORD dst_unused:UNUSED_PAD src0_sel:DWORD src1_sel:WORD_1
	v_fma_f16 v67, v14, v16, v60
	v_mul_f16_sdwa v14, v14, v16 dst_sel:DWORD dst_unused:UNUSED_PAD src0_sel:DWORD src1_sel:WORD_1
	v_fma_f16 v71, v13, v16, -v14
	ds_read2_b32 v[13:14], v116 offset0:86 offset1:211
	v_lshrrev_b32_e32 v60, 16, v65
	v_mul_f16_sdwa v61, v65, v17 dst_sel:DWORD dst_unused:UNUSED_PAD src0_sel:DWORD src1_sel:WORD_1
	v_fma_f16 v75, v60, v17, v61
	v_mul_f16_sdwa v60, v60, v17 dst_sel:DWORD dst_unused:UNUSED_PAD src0_sel:DWORD src1_sel:WORD_1
	v_fma_f16 v65, v65, v17, -v60
	s_waitcnt lgkmcnt(0)
	v_lshrrev_b32_e32 v60, 16, v14
	v_mul_f16_sdwa v61, v14, v18 dst_sel:DWORD dst_unused:UNUSED_PAD src0_sel:DWORD src1_sel:WORD_1
	v_fma_f16 v137, v60, v18, v61
	v_mul_f16_sdwa v60, v60, v18 dst_sel:DWORD dst_unused:UNUSED_PAD src0_sel:DWORD src1_sel:WORD_1
	v_fma_f16 v14, v14, v18, -v60
	v_lshrrev_b32_e32 v60, 16, v69
	v_mul_f16_sdwa v61, v69, v19 dst_sel:DWORD dst_unused:UNUSED_PAD src0_sel:DWORD src1_sel:WORD_1
	v_fma_f16 v139, v60, v19, v61
	v_mul_f16_sdwa v60, v60, v19 dst_sel:DWORD dst_unused:UNUSED_PAD src0_sel:DWORD src1_sel:WORD_1
	v_fma_f16 v69, v69, v19, -v60
	v_sub_f16_e32 v60, v71, v65
	v_sub_f16_e32 v61, v69, v14
	v_add_f16_e32 v142, v60, v61
	v_sub_f16_e32 v60, v67, v75
	v_sub_f16_e32 v61, v139, v137
	v_add_f16_e32 v153, v60, v61
	v_add_f16_e32 v60, v73, v71
	;; [unrolled: 1-line block ×9, first 2 shown]
	v_pack_b32_f16 v155, v60, v61
	v_add_f16_e32 v60, v65, v14
	v_add_f16_e32 v61, v75, v137
	v_fma_f16 v156, v60, -0.5, v73
	v_sub_f16_e32 v157, v67, v139
	v_fma_f16 v159, v61, -0.5, v154
	v_sub_f16_e32 v160, v71, v69
	v_fma_f16 v60, v157, s0, v156
	v_sub_f16_e32 v158, v75, v137
	v_fma_f16 v61, v160, s12, v159
	;; [unrolled: 2-line block ×3, first 2 shown]
	v_fma_f16 v61, v161, s7, v61
	v_fma_f16 v60, v142, s6, v60
	;; [unrolled: 1-line block ×3, first 2 shown]
	v_pack_b32_f16 v162, v60, v61
	ds_read_b32 v163, v81 offset:12000
	ds_read2_b32 v[77:78], v109 offset0:110 offset1:235
	ds_read2_b32 v[79:80], v107 offset0:80 offset1:205
	ds_read2_b32 v[143:144], v104 offset0:122 offset1:247
	ds_read2_b32 v[145:146], v101 offset0:92 offset1:217
	ds_read2_b32 v[147:148], v99 offset0:62 offset1:187
	ds_read2_b32 v[149:150], v94 offset0:104 offset1:229
	ds_read2_b32 v[151:152], v91 offset0:74 offset1:199
	global_load_dwordx4 v[60:63], v[56:57], off offset:480
	s_nop 0
	global_load_dwordx4 v[56:59], v[58:59], off offset:480
	v_sub_f16_e32 v65, v65, v71
	v_add_f16_e32 v71, v71, v69
	v_sub_f16_e32 v14, v14, v69
	v_add_f16_e32 v14, v65, v14
	v_fma_f16 v65, v71, -0.5, v73
	v_fma_f16 v69, v158, s12, v65
	v_fma_f16 v65, v158, s0, v65
	;; [unrolled: 1-line block ×6, first 2 shown]
	v_add_f16_e32 v65, v67, v139
	v_fma_f16 v65, v65, -0.5, v154
	v_sub_f16_e32 v67, v75, v67
	v_sub_f16_e32 v71, v137, v139
	v_add_f16_e32 v67, v67, v71
	v_fma_f16 v71, v161, s0, v65
	v_fma_f16 v65, v161, s12, v65
	;; [unrolled: 1-line block ×6, first 2 shown]
	v_pack_b32_f16 v67, v69, v71
	v_pack_b32_f16 v14, v14, v65
	s_waitcnt vmcnt(0) lgkmcnt(0)
	s_barrier
	ds_write2_b32 v81, v155, v162 offset1:125
	ds_write2_b32 v104, v67, v14 offset0:122 offset1:247
	v_lshrrev_b32_e32 v14, 16, v66
	v_mul_f16_sdwa v65, v14, v17 dst_sel:DWORD dst_unused:UNUSED_PAD src0_sel:DWORD src1_sel:WORD_1
	v_lshrrev_b32_e32 v71, 16, v77
	v_mul_f16_sdwa v73, v77, v16 dst_sel:DWORD dst_unused:UNUSED_PAD src0_sel:DWORD src1_sel:WORD_1
	v_fma_f16 v65, v66, v17, -v65
	v_mul_f16_sdwa v66, v66, v17 dst_sel:DWORD dst_unused:UNUSED_PAD src0_sel:DWORD src1_sel:WORD_1
	v_fma_f16 v73, v71, v16, v73
	v_mul_f16_sdwa v71, v71, v16 dst_sel:DWORD dst_unused:UNUSED_PAD src0_sel:DWORD src1_sel:WORD_1
	v_fma_f16 v14, v14, v17, v66
	v_lshrrev_b32_e32 v66, 16, v70
	v_fma_f16 v71, v77, v16, -v71
	v_lshrrev_b32_e32 v75, 16, v79
	v_mul_f16_sdwa v77, v79, v18 dst_sel:DWORD dst_unused:UNUSED_PAD src0_sel:DWORD src1_sel:WORD_1
	v_mul_f16_sdwa v67, v66, v19 dst_sel:DWORD dst_unused:UNUSED_PAD src0_sel:DWORD src1_sel:WORD_1
	v_mul_f16_sdwa v69, v70, v19 dst_sel:DWORD dst_unused:UNUSED_PAD src0_sel:DWORD src1_sel:WORD_1
	v_fma_f16 v77, v75, v18, v77
	v_mul_f16_sdwa v75, v75, v18 dst_sel:DWORD dst_unused:UNUSED_PAD src0_sel:DWORD src1_sel:WORD_1
	v_fma_f16 v67, v70, v19, -v67
	v_fma_f16 v66, v66, v19, v69
	v_fma_f16 v69, v157, s12, v156
	;; [unrolled: 1-line block ×3, first 2 shown]
	v_fma_f16 v75, v79, v18, -v75
	v_fma_f16 v69, v158, s7, v69
	v_fma_f16 v70, v161, s1, v70
	v_add_f16_e32 v79, v65, v75
	v_add_f16_e32 v137, v71, v67
	v_fma_f16 v69, v142, s6, v69
	v_fma_f16 v70, v153, s6, v70
	v_fma_f16 v79, v79, -0.5, v74
	v_fma_f16 v137, v137, -0.5, v74
	v_lshrrev_b32_e32 v139, 16, v74
	v_add_f16_e32 v74, v74, v71
	v_pack_b32_f16 v69, v69, v70
	v_add_f16_e32 v70, v74, v65
	v_add_f16_e32 v74, v139, v73
	;; [unrolled: 1-line block ×7, first 2 shown]
	v_pack_b32_f16 v70, v70, v74
	ds_write2_b32 v118, v69, v70 offset0:116 offset1:241
	v_sub_f16_e32 v69, v71, v65
	v_sub_f16_e32 v70, v67, v75
	v_add_f16_e32 v69, v69, v70
	v_sub_f16_e32 v70, v65, v71
	v_sub_f16_e32 v74, v75, v67
	v_add_f16_e32 v70, v70, v74
	v_sub_f16_e32 v67, v71, v67
	v_sub_f16_e32 v71, v73, v14
	;; [unrolled: 1-line block ×4, first 2 shown]
	v_add_f16_e32 v71, v71, v74
	v_add_f16_e32 v74, v14, v77
	;; [unrolled: 1-line block ×3, first 2 shown]
	v_fma_f16 v74, v74, -0.5, v139
	v_fma_f16 v75, v75, -0.5, v139
	v_sub_f16_e32 v139, v73, v66
	v_sub_f16_e32 v73, v14, v73
	v_sub_f16_e32 v66, v77, v66
	v_sub_f16_e32 v14, v14, v77
	v_add_f16_e32 v66, v73, v66
	v_fma_f16 v73, v139, s0, v79
	v_fma_f16 v77, v67, s12, v74
	v_fma_f16 v73, v14, s1, v73
	v_fma_f16 v77, v65, s7, v77
	v_fma_f16 v73, v69, s6, v73
	v_fma_f16 v77, v71, s6, v77
	v_pack_b32_f16 v73, v73, v77
	v_fma_f16 v77, v14, s12, v137
	v_fma_f16 v142, v65, s0, v75
	v_fma_f16 v77, v139, s1, v77
	v_fma_f16 v142, v67, s7, v142
	v_fma_f16 v77, v70, s6, v77
	v_fma_f16 v142, v66, s6, v142
	v_pack_b32_f16 v77, v77, v142
	ds_write2_b32 v109, v73, v77 offset0:110 offset1:235
	v_fma_f16 v73, v139, s12, v79
	v_fma_f16 v73, v14, s7, v73
	;; [unrolled: 1-line block ×12, first 2 shown]
	v_pack_b32_f16 v14, v14, v65
	v_pack_b32_f16 v65, v69, v70
	ds_write2_b32 v94, v14, v65 offset0:104 offset1:229
	v_lshrrev_b32_e32 v14, 16, v78
	v_mul_f16_sdwa v66, v78, v32 dst_sel:DWORD dst_unused:UNUSED_PAD src0_sel:DWORD src1_sel:WORD_1
	v_mul_f16_sdwa v65, v14, v32 dst_sel:DWORD dst_unused:UNUSED_PAD src0_sel:DWORD src1_sel:WORD_1
	v_fma_f16 v14, v14, v32, v66
	v_lshrrev_b32_e32 v66, 16, v80
	v_mul_f16_sdwa v69, v80, v34 dst_sel:DWORD dst_unused:UNUSED_PAD src0_sel:DWORD src1_sel:WORD_1
	v_mul_f16_sdwa v67, v66, v34 dst_sel:DWORD dst_unused:UNUSED_PAD src0_sel:DWORD src1_sel:WORD_1
	v_fma_f16 v66, v66, v34, v69
	v_lshrrev_b32_e32 v69, 16, v145
	v_mul_f16_sdwa v70, v145, v33 dst_sel:DWORD dst_unused:UNUSED_PAD src0_sel:DWORD src1_sel:WORD_1
	v_lshrrev_b32_e32 v71, 16, v147
	v_mul_f16_sdwa v73, v147, v35 dst_sel:DWORD dst_unused:UNUSED_PAD src0_sel:DWORD src1_sel:WORD_1
	v_fma_f16 v70, v69, v33, v70
	v_mul_f16_sdwa v69, v69, v33 dst_sel:DWORD dst_unused:UNUSED_PAD src0_sel:DWORD src1_sel:WORD_1
	v_fma_f16 v73, v71, v35, v73
	v_mul_f16_sdwa v71, v71, v35 dst_sel:DWORD dst_unused:UNUSED_PAD src0_sel:DWORD src1_sel:WORD_1
	v_fma_f16 v65, v78, v32, -v65
	v_fma_f16 v67, v80, v34, -v67
	;; [unrolled: 1-line block ×4, first 2 shown]
	v_sub_f16_e32 v74, v65, v69
	v_sub_f16_e32 v75, v71, v67
	v_add_f16_e32 v74, v74, v75
	v_sub_f16_e32 v75, v14, v70
	v_sub_f16_e32 v77, v73, v66
	v_lshrrev_b32_e32 v78, 16, v143
	v_add_f16_e32 v75, v75, v77
	v_add_f16_e32 v77, v143, v65
	v_add_f16_e32 v79, v78, v14
	v_add_f16_e32 v77, v77, v69
	v_add_f16_e32 v79, v79, v70
	v_add_f16_e32 v77, v77, v67
	v_add_f16_e32 v79, v79, v66
	v_add_f16_e32 v77, v77, v71
	v_add_f16_e32 v79, v79, v73
	v_pack_b32_f16 v77, v77, v79
	v_add_f16_e32 v79, v69, v67
	v_add_f16_e32 v139, v70, v66
	v_fma_f16 v79, v79, -0.5, v143
	v_sub_f16_e32 v80, v14, v73
	v_fma_f16 v154, v139, -0.5, v78
	v_sub_f16_e32 v155, v65, v71
	v_fma_f16 v137, v80, s0, v79
	v_sub_f16_e32 v153, v70, v66
	v_fma_f16 v139, v155, s12, v154
	;; [unrolled: 2-line block ×3, first 2 shown]
	v_fma_f16 v139, v156, s7, v139
	v_fma_f16 v137, v74, s6, v137
	;; [unrolled: 1-line block ×3, first 2 shown]
	v_pack_b32_f16 v139, v137, v139
	v_lshlrev_b32_e32 v137, 2, v31
	v_sub_f16_e32 v31, v69, v65
	v_add_f16_e32 v65, v65, v71
	v_sub_f16_e32 v67, v67, v71
	v_fma_f16 v65, v65, -0.5, v143
	v_add_f16_e32 v31, v31, v67
	v_fma_f16 v67, v153, s12, v65
	v_fma_f16 v65, v153, s0, v65
	;; [unrolled: 1-line block ×6, first 2 shown]
	v_add_f16_e32 v65, v14, v73
	v_fma_f16 v65, v65, -0.5, v78
	v_sub_f16_e32 v14, v70, v14
	v_sub_f16_e32 v66, v66, v73
	v_add_f16_e32 v14, v14, v66
	v_fma_f16 v66, v156, s0, v65
	v_fma_f16 v65, v156, s12, v65
	;; [unrolled: 1-line block ×6, first 2 shown]
	v_pack_b32_f16 v65, v67, v66
	v_pack_b32_f16 v14, v31, v14
	v_add_u32_e32 v143, 0x1600, v137
	ds_write2_b32 v143, v65, v14 offset0:92 offset1:217
	v_lshrrev_b32_e32 v14, 16, v146
	v_mul_f16_sdwa v65, v146, v61 dst_sel:DWORD dst_unused:UNUSED_PAD src0_sel:DWORD src1_sel:WORD_1
	v_mul_f16_sdwa v31, v14, v61 dst_sel:DWORD dst_unused:UNUSED_PAD src0_sel:DWORD src1_sel:WORD_1
	v_fma_f16 v14, v14, v61, v65
	v_lshrrev_b32_e32 v65, 16, v148
	v_mul_f16_sdwa v67, v148, v63 dst_sel:DWORD dst_unused:UNUSED_PAD src0_sel:DWORD src1_sel:WORD_1
	v_mul_f16_sdwa v66, v65, v63 dst_sel:DWORD dst_unused:UNUSED_PAD src0_sel:DWORD src1_sel:WORD_1
	v_fma_f16 v65, v65, v63, v67
	v_lshrrev_b32_e32 v67, 16, v149
	v_mul_f16_sdwa v69, v149, v60 dst_sel:DWORD dst_unused:UNUSED_PAD src0_sel:DWORD src1_sel:WORD_1
	v_lshrrev_b32_e32 v70, 16, v151
	v_mul_f16_sdwa v71, v151, v62 dst_sel:DWORD dst_unused:UNUSED_PAD src0_sel:DWORD src1_sel:WORD_1
	v_fma_f16 v69, v67, v60, v69
	v_mul_f16_sdwa v67, v67, v60 dst_sel:DWORD dst_unused:UNUSED_PAD src0_sel:DWORD src1_sel:WORD_1
	v_fma_f16 v71, v70, v62, v71
	v_mul_f16_sdwa v70, v70, v62 dst_sel:DWORD dst_unused:UNUSED_PAD src0_sel:DWORD src1_sel:WORD_1
	v_add_u32_e32 v142, 0x1200, v137
	v_fma_f16 v31, v146, v61, -v31
	v_fma_f16 v66, v148, v63, -v66
	;; [unrolled: 1-line block ×4, first 2 shown]
	ds_write2_b32 v142, v77, v139 offset0:98 offset1:223
	v_add_f16_e32 v73, v31, v70
	v_add_f16_e32 v77, v67, v66
	v_fma_f16 v73, v73, -0.5, v144
	v_fma_f16 v77, v77, -0.5, v144
	v_lshrrev_b32_e32 v78, 16, v144
	v_add_f16_e32 v139, v144, v67
	v_sub_f16_e32 v144, v67, v31
	v_sub_f16_e32 v145, v66, v70
	v_add_f16_e32 v149, v144, v145
	v_sub_f16_e32 v144, v69, v14
	v_sub_f16_e32 v145, v65, v71
	v_add_f16_e32 v151, v144, v145
	v_add_f16_e32 v144, v78, v69
	v_add_f16_e32 v139, v139, v31
	v_add_f16_e32 v144, v144, v14
	v_add_f16_e32 v139, v139, v70
	v_add_f16_e32 v144, v144, v71
	v_add_f16_e32 v145, v14, v71
	v_add_f16_e32 v139, v139, v66
	v_add_f16_e32 v144, v144, v65
	v_sub_f16_e32 v157, v69, v65
	v_fma_f16 v159, v145, -0.5, v78
	v_sub_f16_e32 v160, v67, v66
	v_pack_b32_f16 v144, v139, v144
	v_fma_f16 v139, v157, s0, v73
	v_sub_f16_e32 v158, v14, v71
	v_fma_f16 v145, v160, s12, v159
	v_sub_f16_e32 v161, v31, v70
	v_fma_f16 v139, v158, s1, v139
	v_fma_f16 v145, v161, s7, v145
	;; [unrolled: 1-line block ×4, first 2 shown]
	v_pack_b32_f16 v145, v139, v145
	v_lshlrev_b32_e32 v139, 2, v30
	v_sub_f16_e32 v30, v31, v67
	v_sub_f16_e32 v31, v70, v66
	v_add_f16_e32 v30, v30, v31
	v_fma_f16 v31, v158, s12, v77
	v_fma_f16 v66, v158, s0, v77
	;; [unrolled: 1-line block ×6, first 2 shown]
	v_add_f16_e32 v66, v69, v65
	v_fma_f16 v66, v66, -0.5, v78
	v_sub_f16_e32 v14, v14, v69
	v_sub_f16_e32 v65, v71, v65
	v_add_f16_e32 v14, v14, v65
	v_fma_f16 v65, v161, s0, v66
	v_fma_f16 v66, v161, s12, v66
	;; [unrolled: 1-line block ×6, first 2 shown]
	v_pack_b32_f16 v31, v31, v65
	v_pack_b32_f16 v14, v30, v14
	v_add_u32_e32 v146, 0x2000, v139
	ds_write2_b32 v146, v31, v14 offset0:77 offset1:202
	v_lshrrev_b32_e32 v14, 16, v150
	v_mul_f16_sdwa v31, v150, v56 dst_sel:DWORD dst_unused:UNUSED_PAD src0_sel:DWORD src1_sel:WORD_1
	v_mul_f16_sdwa v30, v14, v56 dst_sel:DWORD dst_unused:UNUSED_PAD src0_sel:DWORD src1_sel:WORD_1
	v_fma_f16 v14, v14, v56, v31
	v_lshrrev_b32_e32 v31, 16, v13
	v_mul_f16_sdwa v65, v31, v57 dst_sel:DWORD dst_unused:UNUSED_PAD src0_sel:DWORD src1_sel:WORD_1
	v_fma_f16 v65, v13, v57, -v65
	v_mul_f16_sdwa v13, v13, v57 dst_sel:DWORD dst_unused:UNUSED_PAD src0_sel:DWORD src1_sel:WORD_1
	v_fma_f16 v13, v31, v57, v13
	v_lshrrev_b32_e32 v31, 16, v152
	v_mul_f16_sdwa v67, v152, v58 dst_sel:DWORD dst_unused:UNUSED_PAD src0_sel:DWORD src1_sel:WORD_1
	v_mul_f16_sdwa v66, v31, v58 dst_sel:DWORD dst_unused:UNUSED_PAD src0_sel:DWORD src1_sel:WORD_1
	v_fma_f16 v31, v31, v58, v67
	v_lshrrev_b32_e32 v67, 16, v163
	v_mul_f16_sdwa v69, v67, v59 dst_sel:DWORD dst_unused:UNUSED_PAD src0_sel:DWORD src1_sel:WORD_1
	v_add_u32_e32 v147, 0x1c00, v139
	v_fma_f16 v30, v150, v56, -v30
	v_fma_f16 v66, v152, v58, -v66
	;; [unrolled: 1-line block ×3, first 2 shown]
	v_mul_f16_sdwa v70, v163, v59 dst_sel:DWORD dst_unused:UNUSED_PAD src0_sel:DWORD src1_sel:WORD_1
	ds_write2_b32 v147, v144, v145 offset0:83 offset1:208
	v_fma_f16 v67, v67, v59, v70
	v_sub_f16_e32 v78, v30, v65
	v_sub_f16_e32 v144, v69, v66
	v_add_f16_e32 v70, v65, v66
	v_add_f16_e32 v71, v30, v69
	v_lshrrev_b32_e32 v77, 16, v12
	v_add_f16_e32 v78, v78, v144
	v_sub_f16_e32 v144, v14, v13
	v_sub_f16_e32 v145, v67, v31
	v_fma_f16 v70, v70, -0.5, v12
	v_fma_f16 v71, v71, -0.5, v12
	v_add_f16_e32 v12, v12, v30
	v_add_f16_e32 v150, v144, v145
	;; [unrolled: 1-line block ×10, first 2 shown]
	v_sub_f16_e32 v152, v14, v67
	v_fma_f16 v163, v145, -0.5, v77
	v_sub_f16_e32 v164, v30, v69
	v_pack_b32_f16 v12, v12, v144
	v_fma_f16 v144, v152, s0, v70
	v_sub_f16_e32 v162, v13, v31
	v_fma_f16 v145, v164, s12, v163
	v_sub_f16_e32 v165, v65, v66
	v_fma_f16 v144, v162, s1, v144
	v_fma_f16 v145, v165, s7, v145
	v_fma_f16 v144, v78, s6, v144
	v_fma_f16 v145, v150, s6, v145
	v_pack_b32_f16 v148, v144, v145
	v_lshlrev_b32_e32 v144, 2, v29
	v_add_u32_e32 v145, 0x2600, v144
	ds_write2_b32 v145, v12, v148 offset0:68 offset1:193
	v_sub_f16_e32 v12, v65, v30
	v_sub_f16_e32 v29, v66, v69
	v_add_f16_e32 v12, v12, v29
	v_fma_f16 v29, v162, s12, v71
	v_fma_f16 v30, v162, s0, v71
	;; [unrolled: 1-line block ×6, first 2 shown]
	v_add_f16_e32 v30, v14, v67
	v_fma_f16 v30, v30, -0.5, v77
	v_sub_f16_e32 v13, v13, v14
	v_sub_f16_e32 v14, v31, v67
	v_add_f16_e32 v13, v13, v14
	v_fma_f16 v14, v165, s0, v30
	v_fma_f16 v30, v165, s12, v30
	;; [unrolled: 1-line block ×6, first 2 shown]
	v_pack_b32_f16 v14, v29, v14
	v_pack_b32_f16 v12, v12, v13
	v_add_u32_e32 v148, 0x2a00, v144
	ds_write2_b32 v148, v14, v12 offset0:62 offset1:187
	v_fma_f16 v12, v80, s12, v79
	v_fma_f16 v13, v155, s0, v154
	;; [unrolled: 1-line block ×16, first 2 shown]
	v_pack_b32_f16 v12, v12, v13
	v_fma_f16 v30, v78, s6, v30
	v_fma_f16 v31, v150, s6, v31
	ds_write_b32 v137, v12 offset:7000
	v_pack_b32_f16 v12, v14, v29
	ds_write_b32 v139, v12 offset:9500
	v_pack_b32_f16 v12, v30, v31
	ds_write_b32 v144, v12 offset:12000
	s_waitcnt lgkmcnt(0)
	s_barrier
	global_load_dwordx4 v[12:15], v15, s[2:3] offset:2480
	ds_read2_b32 v[65:66], v117 offset0:98 offset1:223
	global_load_dwordx4 v[28:31], v28, s[2:3] offset:2480
	ds_read2_b32 v[77:78], v118 offset0:116 offset1:241
	ds_read2_b32 v[79:80], v116 offset0:86 offset1:211
	s_waitcnt lgkmcnt(2)
	v_lshrrev_b32_e32 v67, 16, v65
	s_waitcnt vmcnt(1)
	v_mul_f16_sdwa v69, v65, v13 dst_sel:DWORD dst_unused:UNUSED_PAD src0_sel:DWORD src1_sel:WORD_1
	v_fma_f16 v71, v67, v13, v69
	ds_read2_b32 v[69:70], v115 offset0:68 offset1:193
	v_mul_f16_sdwa v67, v67, v13 dst_sel:DWORD dst_unused:UNUSED_PAD src0_sel:DWORD src1_sel:WORD_1
	v_fma_f16 v150, v65, v13, -v67
	v_lshrrev_b32_e32 v65, 16, v66
	s_waitcnt vmcnt(0)
	v_mul_f16_sdwa v67, v65, v29 dst_sel:DWORD dst_unused:UNUSED_PAD src0_sel:DWORD src1_sel:WORD_1
	v_fma_f16 v74, v66, v29, -v67
	v_mul_f16_sdwa v66, v66, v29 dst_sel:DWORD dst_unused:UNUSED_PAD src0_sel:DWORD src1_sel:WORD_1
	v_fma_f16 v73, v65, v29, v66
	s_waitcnt lgkmcnt(0)
	v_lshrrev_b32_e32 v65, 16, v69
	v_mul_f16_sdwa v66, v69, v15 dst_sel:DWORD dst_unused:UNUSED_PAD src0_sel:DWORD src1_sel:WORD_1
	v_fma_f16 v151, v65, v15, v66
	v_mul_f16_sdwa v65, v65, v15 dst_sel:DWORD dst_unused:UNUSED_PAD src0_sel:DWORD src1_sel:WORD_1
	v_fma_f16 v152, v69, v15, -v65
	v_lshrrev_b32_e32 v65, 16, v70
	v_mul_f16_sdwa v66, v65, v31 dst_sel:DWORD dst_unused:UNUSED_PAD src0_sel:DWORD src1_sel:WORD_1
	v_fma_f16 v149, v70, v31, -v66
	v_mul_f16_sdwa v66, v70, v31 dst_sel:DWORD dst_unused:UNUSED_PAD src0_sel:DWORD src1_sel:WORD_1
	v_fma_f16 v75, v65, v31, v66
	v_lshrrev_b32_e32 v65, 16, v78
	v_mul_f16_sdwa v66, v78, v12 dst_sel:DWORD dst_unused:UNUSED_PAD src0_sel:DWORD src1_sel:WORD_1
	v_fma_f16 v153, v65, v12, v66
	v_mul_f16_sdwa v65, v65, v12 dst_sel:DWORD dst_unused:UNUSED_PAD src0_sel:DWORD src1_sel:WORD_1
	v_fma_f16 v78, v78, v12, -v65
	v_lshrrev_b32_e32 v65, 16, v80
	v_mul_f16_sdwa v66, v80, v14 dst_sel:DWORD dst_unused:UNUSED_PAD src0_sel:DWORD src1_sel:WORD_1
	ds_read2_b32 v[69:70], v81 offset1:125
	v_fma_f16 v154, v65, v14, v66
	v_mul_f16_sdwa v65, v65, v14 dst_sel:DWORD dst_unused:UNUSED_PAD src0_sel:DWORD src1_sel:WORD_1
	v_fma_f16 v80, v80, v14, -v65
	v_sub_f16_e32 v65, v78, v150
	v_sub_f16_e32 v66, v152, v80
	v_add_f16_e32 v65, v65, v66
	v_add_f16_e32 v66, v150, v80
	s_waitcnt lgkmcnt(0)
	v_fma_f16 v66, v66, -0.5, v69
	v_sub_f16_e32 v67, v153, v151
	v_fma_f16 v155, v67, s0, v66
	v_sub_f16_e32 v156, v71, v154
	v_fma_f16 v66, v67, s12, v66
	v_fma_f16 v155, v156, s1, v155
	v_fma_f16 v66, v156, s7, v66
	v_fma_f16 v155, v65, s6, v155
	v_fma_f16 v157, v65, s6, v66
	v_sub_f16_e32 v65, v150, v78
	v_sub_f16_e32 v66, v80, v152
	v_add_f16_e32 v158, v65, v66
	v_add_f16_e32 v65, v78, v152
	v_fma_f16 v65, v65, -0.5, v69
	v_fma_f16 v66, v156, s12, v65
	v_fma_f16 v65, v156, s0, v65
	;; [unrolled: 1-line block ×5, first 2 shown]
	global_load_dwordx4 v[64:67], v64, s[2:3] offset:2480
	v_fma_f16 v156, v158, s6, v156
	v_add_f16_e32 v158, v69, v78
	v_add_f16_e32 v158, v158, v150
	;; [unrolled: 1-line block ×4, first 2 shown]
	v_sub_f16_e32 v78, v78, v152
	v_sub_f16_e32 v80, v150, v80
	;; [unrolled: 1-line block ×4, first 2 shown]
	v_add_f16_e32 v150, v150, v152
	v_lshrrev_b32_e32 v69, 16, v69
	v_add_f16_e32 v152, v71, v154
	v_fma_f16 v152, v152, -0.5, v69
	v_fma_f16 v160, v78, s12, v152
	v_fma_f16 v152, v78, s0, v152
	;; [unrolled: 1-line block ×6, first 2 shown]
	v_add_f16_e32 v150, v153, v151
	v_fma_f16 v150, v150, -0.5, v69
	v_add_f16_e32 v69, v69, v153
	v_add_f16_e32 v69, v69, v71
	;; [unrolled: 1-line block ×3, first 2 shown]
	v_sub_f16_e32 v71, v71, v153
	v_add_f16_e32 v69, v69, v151
	v_sub_f16_e32 v151, v154, v151
	v_add_f16_e32 v71, v71, v151
	v_fma_f16 v152, v80, s0, v150
	v_fma_f16 v80, v80, s12, v150
	ds_read2_b32 v[150:151], v109 offset0:110 offset1:235
	v_fma_f16 v152, v78, s7, v152
	v_fma_f16 v78, v78, s1, v80
	;; [unrolled: 1-line block ×3, first 2 shown]
	ds_read2_b32 v[152:153], v107 offset0:80 offset1:205
	v_fma_f16 v71, v71, s6, v78
	s_waitcnt lgkmcnt(1)
	v_lshrrev_b32_e32 v78, 16, v150
	v_mul_f16_sdwa v154, v150, v28 dst_sel:DWORD dst_unused:UNUSED_PAD src0_sel:DWORD src1_sel:WORD_1
	v_lshrrev_b32_e32 v168, 16, v151
	v_fma_f16 v164, v78, v28, v154
	v_mul_f16_sdwa v78, v78, v28 dst_sel:DWORD dst_unused:UNUSED_PAD src0_sel:DWORD src1_sel:WORD_1
	v_fma_f16 v78, v150, v28, -v78
	s_waitcnt lgkmcnt(0)
	v_lshrrev_b32_e32 v150, 16, v152
	v_mul_f16_sdwa v154, v152, v30 dst_sel:DWORD dst_unused:UNUSED_PAD src0_sel:DWORD src1_sel:WORD_1
	v_fma_f16 v165, v150, v30, v154
	v_add_f16_e32 v154, v78, v149
	v_pack_b32_f16 v71, v156, v71
	v_mul_f16_sdwa v150, v150, v30 dst_sel:DWORD dst_unused:UNUSED_PAD src0_sel:DWORD src1_sel:WORD_1
	v_fma_f16 v166, v154, -0.5, v70
	v_pack_b32_f16 v154, v155, v160
	v_pack_b32_f16 v80, v159, v80
	ds_write_b32 v81, v71 offset:7500
	v_pack_b32_f16 v71, v157, v161
	v_fma_f16 v150, v152, v30, -v150
	ds_write_b32 v81, v154 offset:2500
	ds_write_b32 v81, v80 offset:5000
	ds_write_b32 v81, v71 offset:10000
	v_pack_b32_f16 v69, v158, v69
	ds_read_b32 v80, v81 offset:12000
	ds_read2_b32 v[154:155], v104 offset0:122 offset1:247
	ds_read2_b32 v[156:157], v101 offset0:92 offset1:217
	;; [unrolled: 1-line block ×5, first 2 shown]
	v_sub_f16_e32 v171, v149, v150
	v_sub_f16_e32 v172, v75, v165
	v_add_f16_e32 v152, v74, v150
	v_lshrrev_b32_e32 v167, 16, v70
	v_fma_f16 v152, v152, -0.5, v70
	v_add_f16_e32 v70, v70, v78
	v_add_f16_e32 v71, v167, v164
	v_add_f16_e32 v70, v70, v74
	v_add_f16_e32 v71, v71, v73
	v_add_f16_e32 v70, v70, v150
	v_add_f16_e32 v71, v71, v165
	v_add_f16_e32 v179, v73, v165
	v_add_f16_e32 v70, v70, v149
	v_add_f16_e32 v71, v71, v75
	v_fma_f16 v179, v179, -0.5, v167
	v_sub_f16_e32 v180, v78, v149
	v_pack_b32_f16 v70, v70, v71
	v_sub_f16_e32 v178, v73, v165
	v_fma_f16 v181, v180, s12, v179
	v_sub_f16_e32 v182, v74, v150
	s_waitcnt vmcnt(0)
	v_mul_f16_sdwa v169, v168, v64 dst_sel:DWORD dst_unused:UNUSED_PAD src0_sel:DWORD src1_sel:WORD_1
	v_fma_f16 v169, v151, v64, -v169
	v_mul_f16_sdwa v151, v151, v64 dst_sel:DWORD dst_unused:UNUSED_PAD src0_sel:DWORD src1_sel:WORD_1
	v_fma_f16 v151, v168, v64, v151
	v_lshrrev_b32_e32 v168, 16, v153
	v_mul_f16_sdwa v170, v168, v66 dst_sel:DWORD dst_unused:UNUSED_PAD src0_sel:DWORD src1_sel:WORD_1
	v_fma_f16 v170, v153, v66, -v170
	v_mul_f16_sdwa v153, v153, v66 dst_sel:DWORD dst_unused:UNUSED_PAD src0_sel:DWORD src1_sel:WORD_1
	v_fma_f16 v153, v168, v66, v153
	v_sub_f16_e32 v168, v78, v74
	v_add_f16_e32 v168, v168, v171
	v_sub_f16_e32 v171, v164, v73
	v_add_f16_e32 v171, v171, v172
	s_waitcnt lgkmcnt(3)
	v_lshrrev_b32_e32 v172, 16, v156
	v_mul_f16_sdwa v173, v156, v65 dst_sel:DWORD dst_unused:UNUSED_PAD src0_sel:DWORD src1_sel:WORD_1
	v_fma_f16 v173, v172, v65, v173
	v_mul_f16_sdwa v172, v172, v65 dst_sel:DWORD dst_unused:UNUSED_PAD src0_sel:DWORD src1_sel:WORD_1
	v_fma_f16 v156, v156, v65, -v172
	s_waitcnt lgkmcnt(2)
	v_lshrrev_b32_e32 v172, 16, v158
	v_mul_f16_sdwa v174, v158, v67 dst_sel:DWORD dst_unused:UNUSED_PAD src0_sel:DWORD src1_sel:WORD_1
	v_fma_f16 v174, v172, v67, v174
	v_mul_f16_sdwa v172, v172, v67 dst_sel:DWORD dst_unused:UNUSED_PAD src0_sel:DWORD src1_sel:WORD_1
	v_fma_f16 v158, v158, v67, -v172
	v_sub_f16_e32 v172, v169, v156
	v_sub_f16_e32 v175, v158, v170
	v_add_f16_e32 v172, v172, v175
	v_sub_f16_e32 v175, v151, v173
	v_sub_f16_e32 v176, v174, v153
	v_add_f16_e32 v175, v175, v176
	v_sub_f16_e32 v176, v164, v75
	v_fma_f16 v177, v176, s0, v152
	v_sub_f16_e32 v74, v74, v78
	v_sub_f16_e32 v78, v150, v149
	ds_write2_b32 v81, v69, v70 offset1:125
	global_load_dwordx4 v[68:71], v68, s[2:3] offset:2480
	v_fma_f16 v177, v178, s1, v177
	v_fma_f16 v181, v182, s7, v181
	v_add_f16_e32 v78, v74, v78
	v_add_f16_e32 v74, v164, v75
	v_fma_f16 v177, v168, s6, v177
	v_fma_f16 v181, v171, s6, v181
	v_fma_f16 v149, v74, -0.5, v167
	v_sub_f16_e32 v73, v73, v164
	v_sub_f16_e32 v74, v165, v75
	v_pack_b32_f16 v177, v177, v181
	v_add_f16_e32 v181, v156, v170
	v_lshrrev_b32_e32 v186, 16, v154
	v_add_f16_e32 v187, v173, v153
	v_add_f16_e32 v150, v73, v74
	v_sub_f16_e32 v73, v156, v169
	v_sub_f16_e32 v74, v170, v158
	v_fma_f16 v181, v181, -0.5, v154
	v_sub_f16_e32 v183, v151, v174
	v_fma_f16 v187, v187, -0.5, v186
	v_sub_f16_e32 v188, v169, v158
	v_add_f16_e32 v164, v73, v74
	v_sub_f16_e32 v73, v173, v151
	v_sub_f16_e32 v74, v153, v174
	v_fma_f16 v184, v183, s0, v181
	v_sub_f16_e32 v185, v173, v153
	v_fma_f16 v189, v188, s12, v187
	v_sub_f16_e32 v190, v156, v170
	v_add_f16_e32 v165, v73, v74
	v_fma_f16 v73, v178, s12, v166
	v_fma_f16 v74, v182, s0, v149
	;; [unrolled: 1-line block ×10, first 2 shown]
	v_pack_b32_f16 v184, v184, v189
	v_pack_b32_f16 v167, v73, v74
	v_add_f16_e32 v73, v169, v158
	ds_write2_b32 v109, v177, v184 offset0:110 offset1:235
	v_fma_f16 v177, v73, -0.5, v154
	v_fma_f16 v73, v185, s12, v177
	v_fma_f16 v73, v183, s1, v73
	v_fma_f16 v184, v164, s6, v73
	v_add_f16_e32 v73, v151, v174
	v_fma_f16 v189, v73, -0.5, v186
	global_load_dwordx4 v[72:75], v72, s[2:3] offset:2480
	v_fma_f16 v149, v182, s12, v149
	v_fma_f16 v149, v180, s1, v149
	;; [unrolled: 1-line block ×12, first 2 shown]
	v_pack_b32_f16 v78, v78, v149
	v_pack_b32_f16 v149, v150, v164
	ds_write2_b32 v107, v78, v149 offset0:80 offset1:205
	v_fma_f16 v78, v176, s12, v152
	v_fma_f16 v149, v180, s0, v179
	;; [unrolled: 1-line block ×12, first 2 shown]
	v_pack_b32_f16 v78, v78, v149
	v_pack_b32_f16 v149, v150, v152
	ds_write2_b32 v120, v78, v149 offset0:65 offset1:190
	v_lshrrev_b32_e32 v78, 16, v157
	v_add_f16_e32 v154, v154, v169
	s_waitcnt vmcnt(1)
	v_mul_f16_sdwa v149, v78, v69 dst_sel:DWORD dst_unused:UNUSED_PAD src0_sel:DWORD src1_sel:WORD_1
	v_mul_f16_sdwa v150, v157, v69 dst_sel:DWORD dst_unused:UNUSED_PAD src0_sel:DWORD src1_sel:WORD_1
	v_add_f16_e32 v154, v154, v156
	v_add_f16_e32 v151, v186, v151
	v_fma_f16 v149, v157, v69, -v149
	v_fma_f16 v78, v78, v69, v150
	v_lshrrev_b32_e32 v150, 16, v159
	v_mul_f16_sdwa v157, v159, v71 dst_sel:DWORD dst_unused:UNUSED_PAD src0_sel:DWORD src1_sel:WORD_1
	v_add_f16_e32 v154, v154, v170
	v_add_f16_e32 v151, v151, v173
	v_mul_f16_sdwa v152, v150, v71 dst_sel:DWORD dst_unused:UNUSED_PAD src0_sel:DWORD src1_sel:WORD_1
	v_fma_f16 v150, v150, v71, v157
	v_add_f16_e32 v154, v154, v158
	v_add_f16_e32 v151, v151, v153
	s_waitcnt lgkmcnt(5)
	v_lshrrev_b32_e32 v153, 16, v160
	v_mul_f16_sdwa v156, v160, v68 dst_sel:DWORD dst_unused:UNUSED_PAD src0_sel:DWORD src1_sel:WORD_1
	s_waitcnt lgkmcnt(4)
	v_lshrrev_b32_e32 v157, 16, v162
	v_mul_f16_sdwa v158, v162, v70 dst_sel:DWORD dst_unused:UNUSED_PAD src0_sel:DWORD src1_sel:WORD_1
	v_fma_f16 v156, v153, v68, v156
	v_mul_f16_sdwa v153, v153, v68 dst_sel:DWORD dst_unused:UNUSED_PAD src0_sel:DWORD src1_sel:WORD_1
	v_fma_f16 v158, v157, v70, v158
	v_mul_f16_sdwa v157, v157, v70 dst_sel:DWORD dst_unused:UNUSED_PAD src0_sel:DWORD src1_sel:WORD_1
	v_fma_f16 v152, v159, v71, -v152
	v_fma_f16 v153, v160, v68, -v153
	;; [unrolled: 1-line block ×3, first 2 shown]
	v_add_f16_e32 v159, v149, v157
	v_add_f16_e32 v160, v153, v152
	;; [unrolled: 1-line block ×3, first 2 shown]
	v_fma_f16 v159, v159, -0.5, v155
	v_fma_f16 v160, v160, -0.5, v155
	v_lshrrev_b32_e32 v162, 16, v155
	v_add_f16_e32 v155, v155, v153
	v_pack_b32_f16 v151, v154, v151
	v_add_f16_e32 v154, v155, v149
	v_add_f16_e32 v155, v162, v156
	;; [unrolled: 1-line block ×7, first 2 shown]
	v_pack_b32_f16 v154, v154, v155
	ds_write2_b32 v104, v151, v154 offset0:122 offset1:247
	v_lshrrev_b32_e32 v151, 16, v161
	v_fma_f16 v191, v190, s0, v189
	v_fma_f16 v191, v188, s7, v191
	;; [unrolled: 1-line block ×3, first 2 shown]
	v_pack_b32_f16 v184, v184, v191
	s_waitcnt vmcnt(0)
	v_mul_f16_sdwa v155, v161, v72 dst_sel:DWORD dst_unused:UNUSED_PAD src0_sel:DWORD src1_sel:WORD_1
	v_mul_f16_sdwa v154, v151, v72 dst_sel:DWORD dst_unused:UNUSED_PAD src0_sel:DWORD src1_sel:WORD_1
	v_fma_f16 v151, v151, v72, v155
	v_lshrrev_b32_e32 v155, 16, v79
	v_fma_f16 v154, v161, v72, -v154
	v_mul_f16_sdwa v161, v155, v73 dst_sel:DWORD dst_unused:UNUSED_PAD src0_sel:DWORD src1_sel:WORD_1
	v_fma_f16 v161, v79, v73, -v161
	v_mul_f16_sdwa v79, v79, v73 dst_sel:DWORD dst_unused:UNUSED_PAD src0_sel:DWORD src1_sel:WORD_1
	v_fma_f16 v79, v155, v73, v79
	v_lshrrev_b32_e32 v155, 16, v163
	v_mul_f16_sdwa v164, v155, v74 dst_sel:DWORD dst_unused:UNUSED_PAD src0_sel:DWORD src1_sel:WORD_1
	v_fma_f16 v164, v163, v74, -v164
	v_mul_f16_sdwa v163, v163, v74 dst_sel:DWORD dst_unused:UNUSED_PAD src0_sel:DWORD src1_sel:WORD_1
	v_fma_f16 v155, v155, v74, v163
	v_lshrrev_b32_e32 v163, 16, v80
	v_mul_f16_sdwa v165, v163, v75 dst_sel:DWORD dst_unused:UNUSED_PAD src0_sel:DWORD src1_sel:WORD_1
	v_fma_f16 v165, v80, v75, -v165
	v_mul_f16_sdwa v80, v80, v75 dst_sel:DWORD dst_unused:UNUSED_PAD src0_sel:DWORD src1_sel:WORD_1
	v_fma_f16 v80, v163, v75, v80
	v_sub_f16_e32 v163, v153, v149
	v_sub_f16_e32 v166, v152, v157
	ds_write2_b32 v119, v167, v184 offset0:95 offset1:220
	v_add_f16_e32 v163, v163, v166
	v_sub_f16_e32 v166, v156, v78
	v_sub_f16_e32 v167, v150, v158
	v_add_f16_e32 v166, v166, v167
	v_sub_f16_e32 v167, v154, v161
	v_sub_f16_e32 v168, v165, v164
	;; [unrolled: 3-line block ×3, first 2 shown]
	v_add_f16_e32 v172, v78, v158
	v_add_f16_e32 v168, v168, v169
	v_sub_f16_e32 v169, v156, v150
	v_fma_f16 v172, v172, -0.5, v162
	v_sub_f16_e32 v173, v153, v152
	v_fma_f16 v170, v169, s0, v159
	v_sub_f16_e32 v171, v78, v158
	v_fma_f16 v174, v173, s12, v172
	;; [unrolled: 2-line block ×3, first 2 shown]
	v_fma_f16 v174, v175, s7, v174
	v_sub_f16_e32 v149, v149, v153
	v_sub_f16_e32 v152, v157, v152
	v_fma_f16 v170, v163, s6, v170
	v_fma_f16 v174, v166, s6, v174
	v_add_f16_e32 v149, v149, v152
	v_add_f16_e32 v152, v156, v150
	v_sub_f16_e32 v78, v78, v156
	v_sub_f16_e32 v150, v158, v150
	v_pack_b32_f16 v170, v170, v174
	v_add_f16_e32 v174, v161, v164
	v_add_f16_e32 v78, v78, v150
	;; [unrolled: 1-line block ×3, first 2 shown]
	v_fma_f16 v174, v174, -0.5, v77
	v_lshrrev_b32_e32 v179, 16, v77
	v_sub_f16_e32 v181, v154, v165
	v_fma_f16 v150, v150, -0.5, v77
	v_add_f16_e32 v77, v77, v154
	v_sub_f16_e32 v153, v161, v154
	v_sub_f16_e32 v154, v164, v165
	v_fma_f16 v152, v152, -0.5, v162
	v_add_f16_e32 v153, v153, v154
	v_sub_f16_e32 v154, v79, v151
	v_sub_f16_e32 v156, v155, v80
	v_add_f16_e32 v154, v154, v156
	v_fma_f16 v156, v171, s12, v160
	v_fma_f16 v157, v175, s0, v152
	;; [unrolled: 1-line block ×4, first 2 shown]
	v_add_f16_e32 v158, v151, v80
	v_sub_f16_e32 v178, v79, v155
	v_sub_f16_e32 v183, v161, v164
	v_fma_f16 v156, v149, s6, v156
	v_fma_f16 v157, v78, s6, v157
	v_fma_f16 v158, v158, -0.5, v179
	v_sub_f16_e32 v176, v151, v80
	v_pack_b32_f16 v156, v156, v157
	v_fma_f16 v157, v178, s12, v150
	v_fma_f16 v162, v183, s0, v158
	;; [unrolled: 1-line block ×7, first 2 shown]
	v_pack_b32_f16 v157, v157, v162
	v_fma_f16 v152, v173, s1, v152
	ds_write2_b32 v121, v156, v157 offset0:89 offset1:214
	v_fma_f16 v156, v171, s0, v160
	v_fma_f16 v78, v78, s6, v152
	;; [unrolled: 1-line block ×7, first 2 shown]
	v_add_f16_e32 v180, v79, v155
	v_fma_f16 v149, v149, s6, v156
	v_fma_f16 v150, v153, s6, v150
	;; [unrolled: 1-line block ×3, first 2 shown]
	v_fma_f16 v180, v180, -0.5, v179
	v_pack_b32_f16 v78, v149, v78
	v_pack_b32_f16 v149, v150, v152
	ds_write2_b32 v91, v78, v149 offset0:74 offset1:199
	v_fma_f16 v78, v169, s12, v159
	v_fma_f16 v149, v173, s0, v172
	;; [unrolled: 1-line block ×12, first 2 shown]
	v_pack_b32_f16 v78, v78, v149
	v_pack_b32_f16 v149, v150, v152
	ds_write2_b32 v122, v78, v149 offset0:59 offset1:184
	v_add_f16_e32 v78, v179, v151
	v_add_f16_e32 v77, v77, v161
	;; [unrolled: 1-line block ×5, first 2 shown]
	v_fma_f16 v177, v176, s0, v174
	v_fma_f16 v182, v181, s12, v180
	v_add_f16_e32 v77, v77, v165
	v_add_f16_e32 v78, v78, v80
	v_fma_f16 v177, v178, s1, v177
	v_fma_f16 v182, v183, s7, v182
	v_pack_b32_f16 v77, v77, v78
	s_movk_i32 s2, 0x3000
	v_fma_f16 v177, v167, s6, v177
	v_fma_f16 v182, v168, s6, v182
	ds_write_b32 v81, v77 offset:2000
	v_add_co_u32_e32 v77, vcc, s2, v123
	v_pack_b32_f16 v177, v177, v182
	v_addc_co_u32_e32 v78, vcc, 0, v124, vcc
	ds_write2_b32 v94, v170, v177 offset0:104 offset1:229
	s_waitcnt lgkmcnt(0)
	s_barrier
	global_load_dword v151, v[77:78], off offset:212
	s_movk_i32 s2, 0x30d4
	v_add_co_u32_e32 v77, vcc, s2, v123
	v_addc_co_u32_e32 v78, vcc, 0, v124, vcc
	global_load_dword v153, v[77:78], off offset:2500
	global_load_dword v154, v[77:78], off offset:3000
	s_movk_i32 s2, 0x4000
	v_add_co_u32_e32 v79, vcc, s2, v123
	v_addc_co_u32_e32 v80, vcc, 0, v124, vcc
	global_load_dword v155, v[79:80], off offset:3616
	s_movk_i32 s2, 0x5000
	v_add_co_u32_e32 v123, vcc, s2, v123
	v_addc_co_u32_e32 v124, vcc, 0, v124, vcc
	global_load_dword v156, v[123:124], off offset:20
	global_load_dword v157, v[77:78], off offset:3500
	;; [unrolled: 1-line block ×4, first 2 shown]
	ds_read2_b32 v[149:150], v81 offset1:125
	global_load_dword v160, v[123:124], off offset:1020
	global_load_dword v161, v[79:80], off offset:2116
	;; [unrolled: 1-line block ×7, first 2 shown]
	s_mov_b32 s2, 0xffff
	s_waitcnt lgkmcnt(0)
	v_lshrrev_b32_e32 v152, 16, v149
	s_waitcnt vmcnt(14)
	v_mul_f16_sdwa v166, v149, v151 dst_sel:DWORD dst_unused:UNUSED_PAD src0_sel:DWORD src1_sel:WORD_1
	v_fma_f16 v166, v152, v151, v166
	v_mul_f16_sdwa v152, v152, v151 dst_sel:DWORD dst_unused:UNUSED_PAD src0_sel:DWORD src1_sel:WORD_1
	v_fma_f16 v149, v149, v151, -v152
	v_pack_b32_f16 v149, v149, v166
	ds_write_b32 v81, v149
	ds_read2_b32 v[151:152], v118 offset0:116 offset1:241
	global_load_dword v149, v[77:78], off offset:1500
	global_load_dword v166, v[79:80], off offset:1616
	ds_read2_b32 v[79:80], v109 offset0:110 offset1:235
	s_waitcnt lgkmcnt(1)
	v_lshrrev_b32_e32 v168, 16, v152
	s_waitcnt vmcnt(15)
	v_mul_f16_sdwa v169, v152, v153 dst_sel:DWORD dst_unused:UNUSED_PAD src0_sel:DWORD src1_sel:WORD_1
	v_fma_f16 v169, v168, v153, v169
	v_mul_f16_sdwa v168, v168, v153 dst_sel:DWORD dst_unused:UNUSED_PAD src0_sel:DWORD src1_sel:WORD_1
	v_fma_f16 v152, v152, v153, -v168
	v_pack_b32_f16 v168, v152, v169
	s_waitcnt lgkmcnt(0)
	v_lshrrev_b32_e32 v152, 16, v79
	s_waitcnt vmcnt(14)
	v_mul_f16_sdwa v153, v79, v154 dst_sel:DWORD dst_unused:UNUSED_PAD src0_sel:DWORD src1_sel:WORD_1
	v_fma_f16 v169, v152, v154, v153
	v_mul_f16_sdwa v170, v152, v154 dst_sel:DWORD dst_unused:UNUSED_PAD src0_sel:DWORD src1_sel:WORD_1
	ds_read2_b32 v[152:153], v116 offset0:86 offset1:211
	v_fma_f16 v79, v79, v154, -v170
	v_pack_b32_f16 v79, v79, v169
	v_add_u32_e32 v154, 0x800, v81
	ds_write2_b32 v154, v168, v79 offset0:113 offset1:238
	s_waitcnt lgkmcnt(1)
	v_lshrrev_b32_e32 v79, 16, v153
	s_waitcnt vmcnt(13)
	v_mul_f16_sdwa v154, v153, v155 dst_sel:DWORD dst_unused:UNUSED_PAD src0_sel:DWORD src1_sel:WORD_1
	v_fma_f16 v168, v79, v155, v154
	v_mul_f16_sdwa v79, v79, v155 dst_sel:DWORD dst_unused:UNUSED_PAD src0_sel:DWORD src1_sel:WORD_1
	v_fma_f16 v79, v153, v155, -v79
	ds_read2_b32 v[153:154], v107 offset0:80 offset1:205
	global_load_dword v169, v[123:124], off offset:1520
	global_load_dword v170, v[123:124], off offset:3020
	;; [unrolled: 1-line block ×5, first 2 shown]
	v_pack_b32_f16 v79, v79, v168
	s_waitcnt lgkmcnt(0)
	v_lshrrev_b32_e32 v155, 16, v153
	s_waitcnt vmcnt(17)
	v_mul_f16_sdwa v168, v153, v156 dst_sel:DWORD dst_unused:UNUSED_PAD src0_sel:DWORD src1_sel:WORD_1
	v_fma_f16 v168, v155, v156, v168
	v_mul_f16_sdwa v155, v155, v156 dst_sel:DWORD dst_unused:UNUSED_PAD src0_sel:DWORD src1_sel:WORD_1
	v_fma_f16 v153, v153, v156, -v155
	v_pack_b32_f16 v153, v153, v168
	global_load_dword v168, v[77:78], off offset:500
	v_add_u32_e32 v155, 0x1c00, v81
	ds_write2_b32 v155, v79, v153 offset0:83 offset1:208
	ds_read2_b32 v[155:156], v94 offset0:104 offset1:229
	v_lshrrev_b32_e32 v79, 16, v80
	s_waitcnt vmcnt(17)
	v_mul_f16_sdwa v153, v79, v157 dst_sel:DWORD dst_unused:UNUSED_PAD src0_sel:DWORD src1_sel:WORD_1
	v_fma_f16 v153, v80, v157, -v153
	v_mul_f16_sdwa v80, v80, v157 dst_sel:DWORD dst_unused:UNUSED_PAD src0_sel:DWORD src1_sel:WORD_1
	v_fma_f16 v79, v79, v157, v80
	v_pack_b32_f16 v79, v153, v79
	s_waitcnt lgkmcnt(0)
	v_lshrrev_b32_e32 v80, 16, v155
	s_waitcnt vmcnt(16)
	v_mul_f16_sdwa v153, v155, v158 dst_sel:DWORD dst_unused:UNUSED_PAD src0_sel:DWORD src1_sel:WORD_1
	v_fma_f16 v153, v80, v158, v153
	v_mul_f16_sdwa v80, v80, v158 dst_sel:DWORD dst_unused:UNUSED_PAD src0_sel:DWORD src1_sel:WORD_1
	v_fma_f16 v80, v155, v158, -v80
	global_load_dword v155, v[77:78], off offset:1000
	v_pack_b32_f16 v80, v80, v153
	v_add_u32_e32 v77, 0xc00, v81
	ds_write2_b32 v77, v79, v80 offset0:107 offset1:232
	ds_read2_b32 v[77:78], v91 offset0:74 offset1:199
	v_lshrrev_b32_e32 v79, 16, v154
	s_waitcnt vmcnt(16)
	v_mul_f16_sdwa v80, v79, v159 dst_sel:DWORD dst_unused:UNUSED_PAD src0_sel:DWORD src1_sel:WORD_1
	v_mul_f16_sdwa v153, v154, v159 dst_sel:DWORD dst_unused:UNUSED_PAD src0_sel:DWORD src1_sel:WORD_1
	v_fma_f16 v80, v154, v159, -v80
	v_fma_f16 v79, v79, v159, v153
	v_pack_b32_f16 v79, v80, v79
	s_waitcnt lgkmcnt(0)
	v_lshrrev_b32_e32 v80, 16, v77
	s_waitcnt vmcnt(15)
	v_mul_f16_sdwa v153, v77, v160 dst_sel:DWORD dst_unused:UNUSED_PAD src0_sel:DWORD src1_sel:WORD_1
	v_fma_f16 v153, v80, v160, v153
	v_mul_f16_sdwa v80, v80, v160 dst_sel:DWORD dst_unused:UNUSED_PAD src0_sel:DWORD src1_sel:WORD_1
	v_fma_f16 v77, v77, v160, -v80
	v_pack_b32_f16 v77, v77, v153
	v_add_u32_e32 v80, 0x2000, v81
	ds_write2_b32 v80, v79, v77 offset0:77 offset1:202
	ds_read2_b32 v[79:80], v104 offset0:122 offset1:247
	v_lshrrev_b32_e32 v77, 16, v151
	s_waitcnt vmcnt(9)
	v_mul_f16_sdwa v153, v77, v167 dst_sel:DWORD dst_unused:UNUSED_PAD src0_sel:DWORD src1_sel:WORD_1
	v_fma_f16 v153, v151, v167, -v153
	v_mul_f16_sdwa v151, v151, v167 dst_sel:DWORD dst_unused:UNUSED_PAD src0_sel:DWORD src1_sel:WORD_1
	v_fma_f16 v77, v77, v167, v151
	s_waitcnt lgkmcnt(0)
	v_lshrrev_b32_e32 v151, 16, v80
	v_pack_b32_f16 v77, v153, v77
	s_waitcnt vmcnt(8)
	v_mul_f16_sdwa v154, v80, v149 dst_sel:DWORD dst_unused:UNUSED_PAD src0_sel:DWORD src1_sel:WORD_1
	v_fma_f16 v154, v151, v149, v154
	v_mul_f16_sdwa v151, v151, v149 dst_sel:DWORD dst_unused:UNUSED_PAD src0_sel:DWORD src1_sel:WORD_1
	v_fma_f16 v80, v80, v149, -v151
	v_pack_b32_f16 v80, v80, v154
	ds_read2_b32 v[153:154], v117 offset0:98 offset1:223
	v_add_u32_e32 v149, 0x400, v81
	ds_write2_b32 v149, v80, v77 offset0:119 offset1:244
	v_lshrrev_b32_e32 v77, 16, v156
	v_mul_f16_sdwa v149, v156, v164 dst_sel:DWORD dst_unused:UNUSED_PAD src0_sel:DWORD src1_sel:WORD_1
	v_mul_f16_sdwa v80, v77, v164 dst_sel:DWORD dst_unused:UNUSED_PAD src0_sel:DWORD src1_sel:WORD_1
	v_fma_f16 v77, v77, v164, v149
	s_waitcnt lgkmcnt(1)
	v_lshrrev_b32_e32 v149, 16, v153
	v_mul_f16_sdwa v151, v153, v165 dst_sel:DWORD dst_unused:UNUSED_PAD src0_sel:DWORD src1_sel:WORD_1
	v_fma_f16 v151, v149, v165, v151
	v_mul_f16_sdwa v149, v149, v165 dst_sel:DWORD dst_unused:UNUSED_PAD src0_sel:DWORD src1_sel:WORD_1
	v_fma_f16 v149, v153, v165, -v149
	v_pack_b32_f16 v149, v149, v151
	global_load_dword v151, v[123:124], off offset:4020
	v_fma_f16 v80, v156, v164, -v80
	ds_read2_b32 v[123:124], v115 offset0:68 offset1:193
	v_pack_b32_f16 v77, v80, v77
	v_add_u32_e32 v80, 0x1000, v81
	ds_write2_b32 v80, v77, v149 offset0:101 offset1:226
	v_lshrrev_b32_e32 v77, 16, v78
	s_waitcnt vmcnt(7)
	v_mul_f16_sdwa v80, v77, v169 dst_sel:DWORD dst_unused:UNUSED_PAD src0_sel:DWORD src1_sel:WORD_1
	v_fma_f16 v80, v78, v169, -v80
	v_mul_f16_sdwa v78, v78, v169 dst_sel:DWORD dst_unused:UNUSED_PAD src0_sel:DWORD src1_sel:WORD_1
	v_fma_f16 v77, v77, v169, v78
	s_waitcnt lgkmcnt(1)
	v_lshrrev_b32_e32 v78, 16, v123
	s_waitcnt vmcnt(3)
	v_mul_f16_sdwa v149, v123, v173 dst_sel:DWORD dst_unused:UNUSED_PAD src0_sel:DWORD src1_sel:WORD_1
	v_fma_f16 v149, v78, v173, v149
	v_mul_f16_sdwa v78, v78, v173 dst_sel:DWORD dst_unused:UNUSED_PAD src0_sel:DWORD src1_sel:WORD_1
	v_fma_f16 v78, v123, v173, -v78
	v_pack_b32_f16 v78, v78, v149
	v_pack_b32_f16 v77, v80, v77
	v_add_u32_e32 v80, 0x2400, v81
	ds_write2_b32 v80, v77, v78 offset0:71 offset1:196
	v_lshrrev_b32_e32 v77, 16, v150
	s_waitcnt vmcnt(2)
	v_mul_f16_sdwa v78, v77, v168 dst_sel:DWORD dst_unused:UNUSED_PAD src0_sel:DWORD src1_sel:WORD_1
	v_fma_f16 v80, v150, v168, -v78
	v_mul_f16_sdwa v78, v150, v168 dst_sel:DWORD dst_unused:UNUSED_PAD src0_sel:DWORD src1_sel:WORD_1
	v_fma_f16 v123, v77, v168, v78
	v_lshrrev_b32_e32 v77, 16, v154
	v_mul_f16_sdwa v78, v77, v166 dst_sel:DWORD dst_unused:UNUSED_PAD src0_sel:DWORD src1_sel:WORD_1
	v_fma_f16 v149, v154, v166, -v78
	v_mul_f16_sdwa v78, v154, v166 dst_sel:DWORD dst_unused:UNUSED_PAD src0_sel:DWORD src1_sel:WORD_1
	v_fma_f16 v150, v77, v166, v78
	v_lshrrev_b32_e32 v77, 16, v124
	;; [unrolled: 5-line block ×3, first 2 shown]
	s_waitcnt vmcnt(1)
	v_mul_f16_sdwa v78, v77, v155 dst_sel:DWORD dst_unused:UNUSED_PAD src0_sel:DWORD src1_sel:WORD_1
	v_fma_f16 v154, v79, v155, -v78
	v_mul_f16_sdwa v78, v79, v155 dst_sel:DWORD dst_unused:UNUSED_PAD src0_sel:DWORD src1_sel:WORD_1
	v_fma_f16 v79, v77, v155, v78
	ds_read2_b32 v[77:78], v101 offset0:92 offset1:217
	v_pack_b32_f16 v80, v80, v123
	v_pack_b32_f16 v79, v154, v79
	ds_write2_b32 v81, v80, v79 offset0:125 offset1:250
	v_pack_b32_f16 v123, v149, v150
	s_waitcnt lgkmcnt(1)
	v_lshrrev_b32_e32 v79, 16, v77
	v_mul_f16_sdwa v80, v77, v161 dst_sel:DWORD dst_unused:UNUSED_PAD src0_sel:DWORD src1_sel:WORD_1
	v_fma_f16 v149, v79, v161, v80
	v_mul_f16_sdwa v150, v79, v161 dst_sel:DWORD dst_unused:UNUSED_PAD src0_sel:DWORD src1_sel:WORD_1
	ds_read2_b32 v[79:80], v99 offset0:62 offset1:187
	v_fma_f16 v77, v77, v161, -v150
	v_pack_b32_f16 v77, v77, v149
	ds_write2_b32 v119, v123, v77 offset0:95 offset1:220
	v_pack_b32_f16 v77, v153, v124
	s_waitcnt lgkmcnt(1)
	v_lshrrev_b32_e32 v123, 16, v79
	v_mul_f16_sdwa v124, v79, v170 dst_sel:DWORD dst_unused:UNUSED_PAD src0_sel:DWORD src1_sel:WORD_1
	v_fma_f16 v124, v123, v170, v124
	v_mul_f16_sdwa v123, v123, v170 dst_sel:DWORD dst_unused:UNUSED_PAD src0_sel:DWORD src1_sel:WORD_1
	v_fma_f16 v79, v79, v170, -v123
	v_pack_b32_f16 v79, v79, v124
	ds_write2_b32 v120, v77, v79 offset0:65 offset1:190
	v_lshrrev_b32_e32 v77, 16, v78
	v_mul_f16_sdwa v79, v77, v162 dst_sel:DWORD dst_unused:UNUSED_PAD src0_sel:DWORD src1_sel:WORD_1
	v_fma_f16 v79, v78, v162, -v79
	v_mul_f16_sdwa v78, v78, v162 dst_sel:DWORD dst_unused:UNUSED_PAD src0_sel:DWORD src1_sel:WORD_1
	v_fma_f16 v77, v77, v162, v78
	v_lshrrev_b32_e32 v78, 16, v80
	v_mul_f16_sdwa v123, v78, v171 dst_sel:DWORD dst_unused:UNUSED_PAD src0_sel:DWORD src1_sel:WORD_1
	v_fma_f16 v123, v80, v171, -v123
	v_mul_f16_sdwa v80, v80, v171 dst_sel:DWORD dst_unused:UNUSED_PAD src0_sel:DWORD src1_sel:WORD_1
	ds_read_b32 v150, v81 offset:12000
	v_fma_f16 v78, v78, v171, v80
	v_lshrrev_b32_e32 v80, 16, v152
	v_mul_f16_sdwa v124, v80, v163 dst_sel:DWORD dst_unused:UNUSED_PAD src0_sel:DWORD src1_sel:WORD_1
	v_mul_f16_sdwa v149, v152, v163 dst_sel:DWORD dst_unused:UNUSED_PAD src0_sel:DWORD src1_sel:WORD_1
	v_fma_f16 v124, v152, v163, -v124
	v_fma_f16 v80, v80, v163, v149
	v_pack_b32_f16 v77, v79, v77
	v_pack_b32_f16 v79, v124, v80
	ds_write2_b32 v121, v77, v79 offset0:89 offset1:214
	s_waitcnt lgkmcnt(1)
	v_lshrrev_b32_e32 v77, 16, v150
	s_waitcnt vmcnt(0)
	v_mul_f16_sdwa v79, v77, v151 dst_sel:DWORD dst_unused:UNUSED_PAD src0_sel:DWORD src1_sel:WORD_1
	v_mul_f16_sdwa v80, v150, v151 dst_sel:DWORD dst_unused:UNUSED_PAD src0_sel:DWORD src1_sel:WORD_1
	v_fma_f16 v79, v150, v151, -v79
	v_fma_f16 v77, v77, v151, v80
	v_pack_b32_f16 v78, v123, v78
	v_pack_b32_f16 v77, v79, v77
	ds_write2_b32 v122, v78, v77 offset0:59 offset1:184
	s_waitcnt lgkmcnt(0)
	s_barrier
	ds_read2_b32 v[77:78], v117 offset0:98 offset1:223
	ds_read2_b32 v[79:80], v118 offset0:116 offset1:241
	;; [unrolled: 1-line block ×4, first 2 shown]
	ds_read2_b32 v[151:152], v81 offset1:125
	s_waitcnt lgkmcnt(3)
	v_pk_add_f16 v153, v80, v77 neg_lo:[0,1] neg_hi:[0,1]
	s_waitcnt lgkmcnt(2)
	v_pk_add_f16 v168, v80, v123 neg_lo:[0,1] neg_hi:[0,1]
	;; [unrolled: 2-line block ×3, first 2 shown]
	v_pk_add_f16 v167, v153, v154
	v_pk_add_f16 v153, v77, v150
	s_waitcnt lgkmcnt(0)
	v_pk_fma_f16 v153, v153, 0.5, v151 op_sel_hi:[1,0,1] neg_lo:[1,0,0] neg_hi:[1,0,0]
	v_pk_mul_f16 v154, v168, s0 op_sel_hi:[1,0]
	v_pk_add_f16 v169, v77, v150 neg_lo:[0,1] neg_hi:[0,1]
	v_pk_add_f16 v155, v153, v154 op_sel:[0,1] op_sel_hi:[1,0] neg_lo:[0,1] neg_hi:[0,1]
	v_pk_add_f16 v153, v153, v154 op_sel:[0,1] op_sel_hi:[1,0]
	v_pk_mul_f16 v154, v169, s1 op_sel_hi:[1,0]
	v_pk_add_f16 v171, v153, v154 op_sel:[0,1] op_sel_hi:[1,0]
	v_pk_add_f16 v153, v151, v80
	v_pk_add_f16 v153, v153, v77
	;; [unrolled: 1-line block ×3, first 2 shown]
	v_pk_add_f16 v77, v77, v80 neg_lo:[0,1] neg_hi:[0,1]
	v_pk_add_f16 v80, v80, v123
	v_pk_add_f16 v172, v153, v123
	v_pk_add_f16 v150, v150, v123 neg_lo:[0,1] neg_hi:[0,1]
	v_pk_fma_f16 v80, v80, 0.5, v151 op_sel_hi:[1,0,1] neg_lo:[1,0,0] neg_hi:[1,0,0]
	v_pk_mul_f16 v123, v169, s0 op_sel_hi:[1,0]
	v_pk_add_f16 v77, v77, v150
	v_pk_add_f16 v150, v80, v123 op_sel:[0,1] op_sel_hi:[1,0]
	v_pk_add_f16 v80, v80, v123 op_sel:[0,1] op_sel_hi:[1,0] neg_lo:[0,1] neg_hi:[0,1]
	v_pk_mul_f16 v123, v168, s1 op_sel_hi:[1,0]
	v_pk_add_f16 v150, v150, v123 op_sel:[0,1] op_sel_hi:[1,0] neg_lo:[0,1] neg_hi:[0,1]
	v_pk_add_f16 v80, v80, v123 op_sel:[0,1] op_sel_hi:[1,0]
	v_bfi_b32 v123, s2, v150, v80
	v_bfi_b32 v80, s2, v80, v150
	v_pk_add_f16 v170, v155, v154 op_sel:[0,1] op_sel_hi:[1,0] neg_lo:[0,1] neg_hi:[0,1]
	v_pk_fma_f16 v123, v77, s6, v123 op_sel_hi:[1,0,1]
	v_pk_fma_f16 v77, v77, s6, v80 op_sel_hi:[1,0,1]
	ds_read_b32 v173, v81 offset:12000
	ds_read2_b32 v[153:154], v109 offset0:110 offset1:235
	ds_read2_b32 v[155:156], v107 offset0:80 offset1:205
	;; [unrolled: 1-line block ×7, first 2 shown]
	s_waitcnt lgkmcnt(0)
	s_barrier
	v_bfi_b32 v174, s2, v170, v171
	ds_write2_b32 v125, v123, v77 offset0:2 offset1:3
	v_bfi_b32 v77, s2, v171, v170
	v_pk_fma_f16 v174, v167, s6, v174 op_sel_hi:[1,0,1]
	v_pk_fma_f16 v77, v167, s6, v77 op_sel_hi:[1,0,1]
	ds_write2_b32 v125, v172, v174 offset1:1
	ds_write_b32 v125, v77 offset:16
	v_pk_add_f16 v125, v153, v78 neg_lo:[0,1] neg_hi:[0,1]
	v_pk_add_f16 v150, v124, v155 neg_lo:[0,1] neg_hi:[0,1]
	v_pk_add_f16 v77, v78, v155
	v_pk_add_f16 v125, v125, v150
	v_pk_add_f16 v150, v153, v124 neg_lo:[0,1] neg_hi:[0,1]
	v_pk_fma_f16 v77, v77, 0.5, v152 op_sel_hi:[1,0,1] neg_lo:[1,0,0] neg_hi:[1,0,0]
	v_pk_add_f16 v80, v153, v124
	v_pk_mul_f16 v151, v150, s0 op_sel_hi:[1,0]
	v_pk_fma_f16 v80, v80, 0.5, v152 op_sel_hi:[1,0,1] neg_lo:[1,0,0] neg_hi:[1,0,0]
	v_pk_add_f16 v123, v152, v153
	v_pk_add_f16 v152, v77, v151 op_sel:[0,1] op_sel_hi:[1,0] neg_lo:[0,1] neg_hi:[0,1]
	v_pk_add_f16 v77, v77, v151 op_sel:[0,1] op_sel_hi:[1,0]
	v_pk_add_f16 v151, v78, v155 neg_lo:[0,1] neg_hi:[0,1]
	v_pk_mul_f16 v167, v151, s1 op_sel_hi:[1,0]
	v_pk_add_f16 v152, v152, v167 op_sel:[0,1] op_sel_hi:[1,0] neg_lo:[0,1] neg_hi:[0,1]
	v_pk_add_f16 v77, v77, v167 op_sel:[0,1] op_sel_hi:[1,0]
	v_pk_add_f16 v123, v123, v78
	v_pk_add_f16 v123, v123, v155
	v_bfi_b32 v167, s2, v152, v77
	v_pk_add_f16 v123, v123, v124
	v_pk_fma_f16 v167, v125, s6, v167 op_sel_hi:[1,0,1]
	ds_write2_b32 v127, v123, v167 offset1:1
	v_pk_add_f16 v78, v78, v153 neg_lo:[0,1] neg_hi:[0,1]
	v_pk_add_f16 v123, v155, v124 neg_lo:[0,1] neg_hi:[0,1]
	v_pk_add_f16 v78, v78, v123
	v_pk_mul_f16 v123, v151, s0 op_sel_hi:[1,0]
	v_pk_add_f16 v124, v80, v123 op_sel:[0,1] op_sel_hi:[1,0]
	v_pk_add_f16 v80, v80, v123 op_sel:[0,1] op_sel_hi:[1,0] neg_lo:[0,1] neg_hi:[0,1]
	v_pk_mul_f16 v123, v150, s1 op_sel_hi:[1,0]
	v_pk_add_f16 v124, v124, v123 op_sel:[0,1] op_sel_hi:[1,0] neg_lo:[0,1] neg_hi:[0,1]
	v_pk_add_f16 v80, v80, v123 op_sel:[0,1] op_sel_hi:[1,0]
	v_bfi_b32 v123, s2, v124, v80
	v_bfi_b32 v80, s2, v80, v124
	;; [unrolled: 1-line block ×3, first 2 shown]
	v_pk_fma_f16 v123, v78, s6, v123 op_sel_hi:[1,0,1]
	v_pk_fma_f16 v78, v78, s6, v80 op_sel_hi:[1,0,1]
	;; [unrolled: 1-line block ×3, first 2 shown]
	ds_write2_b32 v127, v123, v78 offset0:2 offset1:3
	ds_write_b32 v127, v77 offset:16
	v_pk_add_f16 v77, v154, v159 neg_lo:[0,1] neg_hi:[0,1]
	v_pk_add_f16 v78, v161, v156 neg_lo:[0,1] neg_hi:[0,1]
	v_pk_add_f16 v77, v77, v78
	v_pk_add_f16 v78, v159, v156
	v_pk_add_f16 v80, v154, v161 neg_lo:[0,1] neg_hi:[0,1]
	v_pk_fma_f16 v78, v78, 0.5, v157 op_sel_hi:[1,0,1] neg_lo:[1,0,0] neg_hi:[1,0,0]
	v_pk_mul_f16 v123, v80, s0 op_sel_hi:[1,0]
	v_pk_add_f16 v124, v78, v123 op_sel:[0,1] op_sel_hi:[1,0] neg_lo:[0,1] neg_hi:[0,1]
	v_pk_add_f16 v78, v78, v123 op_sel:[0,1] op_sel_hi:[1,0]
	v_pk_add_f16 v123, v159, v156 neg_lo:[0,1] neg_hi:[0,1]
	v_pk_mul_f16 v125, v123, s1 op_sel_hi:[1,0]
	v_pk_add_f16 v124, v124, v125 op_sel:[0,1] op_sel_hi:[1,0] neg_lo:[0,1] neg_hi:[0,1]
	v_pk_add_f16 v78, v78, v125 op_sel:[0,1] op_sel_hi:[1,0]
	v_pk_add_f16 v125, v157, v154
	v_pk_add_f16 v125, v125, v159
	;; [unrolled: 1-line block ×3, first 2 shown]
	v_bfi_b32 v127, s2, v124, v78
	v_pk_add_f16 v125, v125, v161
	v_pk_fma_f16 v127, v77, s6, v127 op_sel_hi:[1,0,1]
	ds_write2_b32 v130, v125, v127 offset1:1
	v_pk_add_f16 v125, v154, v161
	v_pk_add_f16 v127, v159, v154 neg_lo:[0,1] neg_hi:[0,1]
	v_pk_add_f16 v150, v156, v161 neg_lo:[0,1] neg_hi:[0,1]
	v_pk_fma_f16 v125, v125, 0.5, v157 op_sel_hi:[1,0,1] neg_lo:[1,0,0] neg_hi:[1,0,0]
	v_pk_mul_f16 v123, v123, s0 op_sel_hi:[1,0]
	v_pk_add_f16 v127, v127, v150
	v_pk_add_f16 v150, v125, v123 op_sel:[0,1] op_sel_hi:[1,0]
	v_pk_add_f16 v123, v125, v123 op_sel:[0,1] op_sel_hi:[1,0] neg_lo:[0,1] neg_hi:[0,1]
	v_pk_mul_f16 v80, v80, s1 op_sel_hi:[1,0]
	v_pk_add_f16 v125, v150, v80 op_sel:[0,1] op_sel_hi:[1,0] neg_lo:[0,1] neg_hi:[0,1]
	v_pk_add_f16 v80, v123, v80 op_sel:[0,1] op_sel_hi:[1,0]
	v_bfi_b32 v123, s2, v125, v80
	v_bfi_b32 v80, s2, v80, v125
	v_pk_fma_f16 v123, v127, s6, v123 op_sel_hi:[1,0,1]
	v_pk_fma_f16 v80, v127, s6, v80 op_sel_hi:[1,0,1]
	v_bfi_b32 v78, s2, v78, v124
	ds_write2_b32 v130, v123, v80 offset0:2 offset1:3
	v_pk_fma_f16 v77, v77, s6, v78 op_sel_hi:[1,0,1]
	v_pk_add_f16 v123, v163, v160 neg_lo:[0,1] neg_hi:[0,1]
	v_pk_add_f16 v124, v162, v165 neg_lo:[0,1] neg_hi:[0,1]
	ds_write_b32 v130, v77 offset:16
	v_pk_add_f16 v77, v160, v165
	v_pk_add_f16 v123, v123, v124
	v_pk_add_f16 v124, v163, v162 neg_lo:[0,1] neg_hi:[0,1]
	v_pk_fma_f16 v77, v77, 0.5, v158 op_sel_hi:[1,0,1] neg_lo:[1,0,0] neg_hi:[1,0,0]
	v_pk_mul_f16 v125, v124, s0 op_sel_hi:[1,0]
	v_pk_add_f16 v127, v77, v125 op_sel:[0,1] op_sel_hi:[1,0] neg_lo:[0,1] neg_hi:[0,1]
	v_pk_add_f16 v77, v77, v125 op_sel:[0,1] op_sel_hi:[1,0]
	v_pk_add_f16 v125, v160, v165 neg_lo:[0,1] neg_hi:[0,1]
	v_pk_add_f16 v80, v158, v163
	v_pk_mul_f16 v130, v125, s1 op_sel_hi:[1,0]
	v_pk_add_f16 v127, v127, v130 op_sel:[0,1] op_sel_hi:[1,0] neg_lo:[0,1] neg_hi:[0,1]
	v_pk_add_f16 v77, v77, v130 op_sel:[0,1] op_sel_hi:[1,0]
	v_pk_add_f16 v80, v80, v160
	v_pk_add_f16 v80, v80, v165
	v_bfi_b32 v130, s2, v127, v77
	v_pk_add_f16 v78, v163, v162
	v_pk_add_f16 v80, v80, v162
	v_pk_fma_f16 v130, v123, s6, v130 op_sel_hi:[1,0,1]
	v_pk_fma_f16 v78, v78, 0.5, v158 op_sel_hi:[1,0,1] neg_lo:[1,0,0] neg_hi:[1,0,0]
	ds_write2_b32 v132, v80, v130 offset1:1
	v_pk_add_f16 v80, v160, v163 neg_lo:[0,1] neg_hi:[0,1]
	v_pk_add_f16 v130, v165, v162 neg_lo:[0,1] neg_hi:[0,1]
	v_pk_mul_f16 v125, v125, s0 op_sel_hi:[1,0]
	v_pk_add_f16 v80, v80, v130
	v_pk_add_f16 v130, v78, v125 op_sel:[0,1] op_sel_hi:[1,0]
	v_pk_add_f16 v78, v78, v125 op_sel:[0,1] op_sel_hi:[1,0] neg_lo:[0,1] neg_hi:[0,1]
	v_pk_mul_f16 v124, v124, s1 op_sel_hi:[1,0]
	v_pk_add_f16 v125, v130, v124 op_sel:[0,1] op_sel_hi:[1,0] neg_lo:[0,1] neg_hi:[0,1]
	v_pk_add_f16 v78, v78, v124 op_sel:[0,1] op_sel_hi:[1,0]
	v_bfi_b32 v124, s2, v125, v78
	v_bfi_b32 v78, s2, v78, v125
	;; [unrolled: 1-line block ×3, first 2 shown]
	v_pk_fma_f16 v124, v80, s6, v124 op_sel_hi:[1,0,1]
	v_pk_fma_f16 v78, v80, s6, v78 op_sel_hi:[1,0,1]
	;; [unrolled: 1-line block ×3, first 2 shown]
	ds_write2_b32 v132, v124, v78 offset0:2 offset1:3
	ds_write_b32 v132, v77 offset:16
	v_pk_add_f16 v77, v164, v149 neg_lo:[0,1] neg_hi:[0,1]
	v_pk_add_f16 v78, v173, v166 neg_lo:[0,1] neg_hi:[0,1]
	v_pk_add_f16 v77, v77, v78
	v_pk_add_f16 v78, v149, v166
	v_pk_add_f16 v80, v164, v173 neg_lo:[0,1] neg_hi:[0,1]
	v_pk_fma_f16 v78, v78, 0.5, v79 op_sel_hi:[1,0,1] neg_lo:[1,0,0] neg_hi:[1,0,0]
	v_pk_mul_f16 v123, v80, s0 op_sel_hi:[1,0]
	v_pk_add_f16 v124, v78, v123 op_sel:[0,1] op_sel_hi:[1,0] neg_lo:[0,1] neg_hi:[0,1]
	v_pk_add_f16 v78, v78, v123 op_sel:[0,1] op_sel_hi:[1,0]
	v_pk_add_f16 v123, v149, v166 neg_lo:[0,1] neg_hi:[0,1]
	v_pk_mul_f16 v125, v123, s1 op_sel_hi:[1,0]
	v_pk_add_f16 v124, v124, v125 op_sel:[0,1] op_sel_hi:[1,0] neg_lo:[0,1] neg_hi:[0,1]
	v_pk_add_f16 v78, v78, v125 op_sel:[0,1] op_sel_hi:[1,0]
	v_pk_add_f16 v125, v79, v164
	v_pk_add_f16 v125, v125, v149
	;; [unrolled: 1-line block ×3, first 2 shown]
	v_bfi_b32 v127, s2, v124, v78
	v_pk_add_f16 v125, v125, v173
	v_pk_fma_f16 v127, v77, s6, v127 op_sel_hi:[1,0,1]
	ds_write2_b32 v129, v125, v127 offset1:1
	v_pk_add_f16 v127, v164, v173
	v_pk_add_f16 v125, v149, v164 neg_lo:[0,1] neg_hi:[0,1]
	v_pk_fma_f16 v79, v127, 0.5, v79 op_sel_hi:[1,0,1] neg_lo:[1,0,0] neg_hi:[1,0,0]
	v_pk_add_f16 v127, v166, v173 neg_lo:[0,1] neg_hi:[0,1]
	v_pk_mul_f16 v123, v123, s0 op_sel_hi:[1,0]
	v_pk_add_f16 v125, v125, v127
	v_pk_add_f16 v127, v79, v123 op_sel:[0,1] op_sel_hi:[1,0]
	v_pk_add_f16 v79, v79, v123 op_sel:[0,1] op_sel_hi:[1,0] neg_lo:[0,1] neg_hi:[0,1]
	v_pk_mul_f16 v80, v80, s1 op_sel_hi:[1,0]
	v_pk_add_f16 v123, v127, v80 op_sel:[0,1] op_sel_hi:[1,0] neg_lo:[0,1] neg_hi:[0,1]
	v_pk_add_f16 v79, v79, v80 op_sel:[0,1] op_sel_hi:[1,0]
	v_bfi_b32 v80, s2, v123, v79
	v_bfi_b32 v79, s2, v79, v123
	;; [unrolled: 1-line block ×3, first 2 shown]
	v_pk_fma_f16 v80, v125, s6, v80 op_sel_hi:[1,0,1]
	v_pk_fma_f16 v79, v125, s6, v79 op_sel_hi:[1,0,1]
	;; [unrolled: 1-line block ×3, first 2 shown]
	ds_write2_b32 v129, v80, v79 offset0:2 offset1:3
	ds_write_b32 v129, v77 offset:16
	s_waitcnt lgkmcnt(0)
	s_barrier
	ds_read2_b32 v[78:79], v109 offset0:110 offset1:235
	ds_read2_b32 v[155:156], v117 offset0:98 offset1:223
	;; [unrolled: 1-line block ×4, first 2 shown]
	s_mov_b32 s2, 0x7aeb597c
	s_waitcnt lgkmcnt(3)
	v_lshrrev_b32_e32 v77, 16, v78
	v_mul_f16_sdwa v80, v4, v78 dst_sel:DWORD dst_unused:UNUSED_PAD src0_sel:WORD_1 src1_sel:DWORD
	v_fma_f16 v125, v4, v77, -v80
	v_mul_f16_sdwa v77, v4, v77 dst_sel:DWORD dst_unused:UNUSED_PAD src0_sel:WORD_1 src1_sel:DWORD
	v_fma_f16 v132, v4, v78, v77
	s_waitcnt lgkmcnt(2)
	v_lshrrev_b32_e32 v4, 16, v156
	v_mul_f16_sdwa v77, v5, v156 dst_sel:DWORD dst_unused:UNUSED_PAD src0_sel:WORD_1 src1_sel:DWORD
	v_fma_f16 v130, v5, v4, -v77
	v_mul_f16_sdwa v4, v5, v4 dst_sel:DWORD dst_unused:UNUSED_PAD src0_sel:WORD_1 src1_sel:DWORD
	v_fma_f16 v151, v5, v156, v4
	;; [unrolled: 6-line block ×4, first 2 shown]
	v_lshrrev_b32_e32 v4, 16, v79
	v_mul_f16_sdwa v5, v40, v4 dst_sel:DWORD dst_unused:UNUSED_PAD src0_sel:WORD_1 src1_sel:DWORD
	v_fma_f16 v78, v40, v79, v5
	v_mul_f16_sdwa v5, v40, v79 dst_sel:DWORD dst_unused:UNUSED_PAD src0_sel:WORD_1 src1_sel:DWORD
	v_lshrrev_b32_e32 v6, 16, v158
	v_fma_f16 v77, v40, v4, -v5
	ds_read2_b32 v[4:5], v101 offset0:92 offset1:217
	v_mul_f16_sdwa v7, v42, v6 dst_sel:DWORD dst_unused:UNUSED_PAD src0_sel:WORD_1 src1_sel:DWORD
	v_fma_f16 v124, v42, v158, v7
	v_mul_f16_sdwa v7, v42, v158 dst_sel:DWORD dst_unused:UNUSED_PAD src0_sel:WORD_1 src1_sel:DWORD
	v_fma_f16 v80, v42, v6, -v7
	ds_read2_b32 v[6:7], v99 offset0:62 offset1:187
	s_waitcnt lgkmcnt(1)
	v_lshrrev_b32_e32 v40, 16, v4
	v_mul_f16_sdwa v42, v41, v4 dst_sel:DWORD dst_unused:UNUSED_PAD src0_sel:WORD_1 src1_sel:DWORD
	v_fma_f16 v123, v41, v40, -v42
	v_mul_f16_sdwa v40, v41, v40 dst_sel:DWORD dst_unused:UNUSED_PAD src0_sel:WORD_1 src1_sel:DWORD
	v_fma_f16 v129, v41, v4, v40
	s_waitcnt lgkmcnt(0)
	v_lshrrev_b32_e32 v4, 16, v6
	v_mul_f16_sdwa v40, v43, v6 dst_sel:DWORD dst_unused:UNUSED_PAD src0_sel:WORD_1 src1_sel:DWORD
	v_fma_f16 v127, v43, v4, -v40
	v_mul_f16_sdwa v4, v43, v4 dst_sel:DWORD dst_unused:UNUSED_PAD src0_sel:WORD_1 src1_sel:DWORD
	v_fma_f16 v149, v43, v6, v4
	v_lshrrev_b32_e32 v4, 16, v5
	v_mul_f16_sdwa v6, v37, v4 dst_sel:DWORD dst_unused:UNUSED_PAD src0_sel:WORD_1 src1_sel:DWORD
	v_fma_f16 v40, v37, v5, v6
	v_mul_f16_sdwa v5, v37, v5 dst_sel:DWORD dst_unused:UNUSED_PAD src0_sel:WORD_1 src1_sel:DWORD
	v_fma_f16 v37, v37, v4, -v5
	ds_read2_b32 v[5:6], v94 offset0:104 offset1:229
	v_lshrrev_b32_e32 v4, 16, v7
	ds_read2_b32 v[156:157], v91 offset0:74 offset1:199
	v_mul_f16_sdwa v41, v39, v4 dst_sel:DWORD dst_unused:UNUSED_PAD src0_sel:WORD_1 src1_sel:DWORD
	v_fma_f16 v42, v39, v7, v41
	v_mul_f16_sdwa v7, v39, v7 dst_sel:DWORD dst_unused:UNUSED_PAD src0_sel:WORD_1 src1_sel:DWORD
	v_fma_f16 v39, v39, v4, -v7
	s_waitcnt lgkmcnt(1)
	v_lshrrev_b32_e32 v4, 16, v5
	v_mul_f16_sdwa v7, v36, v5 dst_sel:DWORD dst_unused:UNUSED_PAD src0_sel:WORD_1 src1_sel:DWORD
	v_fma_f16 v41, v36, v4, -v7
	v_mul_f16_sdwa v4, v36, v4 dst_sel:DWORD dst_unused:UNUSED_PAD src0_sel:WORD_1 src1_sel:DWORD
	v_fma_f16 v79, v36, v5, v4
	s_waitcnt lgkmcnt(0)
	v_lshrrev_b32_e32 v4, 16, v156
	v_mul_f16_sdwa v5, v38, v156 dst_sel:DWORD dst_unused:UNUSED_PAD src0_sel:WORD_1 src1_sel:DWORD
	v_fma_f16 v43, v38, v4, -v5
	v_mul_f16_sdwa v4, v38, v4 dst_sel:DWORD dst_unused:UNUSED_PAD src0_sel:WORD_1 src1_sel:DWORD
	v_fma_f16 v38, v38, v156, v4
	v_lshrrev_b32_e32 v4, 16, v6
	v_mul_f16_sdwa v5, v24, v4 dst_sel:DWORD dst_unused:UNUSED_PAD src0_sel:WORD_1 src1_sel:DWORD
	v_fma_f16 v5, v24, v6, v5
	v_mul_f16_sdwa v6, v24, v6 dst_sel:DWORD dst_unused:UNUSED_PAD src0_sel:WORD_1 src1_sel:DWORD
	v_fma_f16 v4, v24, v4, -v6
	ds_read_b32 v24, v81 offset:12000
	v_lshrrev_b32_e32 v6, 16, v157
	v_mul_f16_sdwa v7, v26, v6 dst_sel:DWORD dst_unused:UNUSED_PAD src0_sel:WORD_1 src1_sel:DWORD
	v_fma_f16 v7, v26, v157, v7
	v_mul_f16_sdwa v36, v26, v157 dst_sel:DWORD dst_unused:UNUSED_PAD src0_sel:WORD_1 src1_sel:DWORD
	ds_read2_b32 v[156:157], v116 offset0:86 offset1:211
	v_fma_f16 v6, v26, v6, -v36
	s_waitcnt lgkmcnt(1)
	v_lshrrev_b32_e32 v26, 16, v24
	v_mul_f16_sdwa v36, v27, v26 dst_sel:DWORD dst_unused:UNUSED_PAD src0_sel:WORD_1 src1_sel:DWORD
	v_fma_f16 v36, v27, v24, v36
	v_mul_f16_sdwa v24, v27, v24 dst_sel:DWORD dst_unused:UNUSED_PAD src0_sel:WORD_1 src1_sel:DWORD
	v_fma_f16 v24, v27, v26, -v24
	s_waitcnt lgkmcnt(0)
	v_lshrrev_b32_e32 v27, 16, v156
	v_mul_f16_sdwa v26, v25, v156 dst_sel:DWORD dst_unused:UNUSED_PAD src0_sel:WORD_1 src1_sel:DWORD
	v_fma_f16 v26, v25, v27, -v26
	v_mul_f16_sdwa v27, v25, v27 dst_sel:DWORD dst_unused:UNUSED_PAD src0_sel:WORD_1 src1_sel:DWORD
	v_fma_f16 v25, v25, v156, v27
	v_lshrrev_b32_e32 v27, 16, v155
	v_mul_f16_sdwa v156, v1, v27 dst_sel:DWORD dst_unused:UNUSED_PAD src0_sel:WORD_1 src1_sel:DWORD
	v_fma_f16 v158, v1, v155, v156
	v_mul_f16_sdwa v155, v1, v155 dst_sel:DWORD dst_unused:UNUSED_PAD src0_sel:WORD_1 src1_sel:DWORD
	v_fma_f16 v27, v1, v27, -v155
	v_lshrrev_b32_e32 v1, 16, v157
	v_mul_f16_sdwa v155, v2, v1 dst_sel:DWORD dst_unused:UNUSED_PAD src0_sel:WORD_1 src1_sel:DWORD
	v_fma_f16 v160, v2, v157, v155
	v_mul_f16_sdwa v155, v2, v157 dst_sel:DWORD dst_unused:UNUSED_PAD src0_sel:WORD_1 src1_sel:DWORD
	v_fma_f16 v157, v2, v1, -v155
	ds_read2_b32 v[1:2], v118 offset0:116 offset1:241
	v_lshrrev_b32_e32 v155, 16, v159
	v_mul_f16_sdwa v156, v3, v155 dst_sel:DWORD dst_unused:UNUSED_PAD src0_sel:WORD_1 src1_sel:DWORD
	v_fma_f16 v161, v3, v159, v156
	v_mul_f16_sdwa v156, v3, v159 dst_sel:DWORD dst_unused:UNUSED_PAD src0_sel:WORD_1 src1_sel:DWORD
	v_fma_f16 v159, v3, v155, -v156
	s_waitcnt lgkmcnt(0)
	v_lshrrev_b32_e32 v3, 16, v2
	v_mul_f16_sdwa v155, v0, v2 dst_sel:DWORD dst_unused:UNUSED_PAD src0_sel:WORD_1 src1_sel:DWORD
	v_fma_f16 v162, v0, v3, -v155
	v_mul_f16_sdwa v3, v0, v3 dst_sel:DWORD dst_unused:UNUSED_PAD src0_sel:WORD_1 src1_sel:DWORD
	v_fma_f16 v0, v0, v2, v3
	ds_read2_b32 v[2:3], v81 offset1:125
	v_sub_f16_e32 v155, v0, v158
	v_sub_f16_e32 v156, v161, v160
	v_add_f16_e32 v163, v155, v156
	v_sub_f16_e32 v155, v162, v27
	v_sub_f16_e32 v156, v159, v157
	s_waitcnt lgkmcnt(0)
	v_lshrrev_b32_e32 v165, 16, v2
	v_add_f16_e32 v164, v155, v156
	v_add_f16_e32 v155, v2, v0
	;; [unrolled: 1-line block ×9, first 2 shown]
	v_pack_b32_f16 v166, v155, v156
	v_add_f16_e32 v155, v158, v160
	v_sub_f16_e32 v171, v0, v161
	v_sub_f16_e32 v172, v158, v160
	;; [unrolled: 1-line block ×3, first 2 shown]
	v_add_f16_e32 v0, v0, v161
	v_sub_f16_e32 v169, v27, v157
	v_fma_f16 v0, v0, -0.5, v2
	v_fma_f16 v167, v155, -0.5, v2
	v_sub_f16_e32 v168, v162, v159
	v_sub_f16_e32 v160, v160, v161
	v_fma_f16 v2, v169, s0, v0
	v_fma_f16 v0, v169, s12, v0
	v_add_f16_e32 v158, v158, v160
	v_fma_f16 v2, v168, s7, v2
	v_fma_f16 v0, v168, s1, v0
	;; [unrolled: 1-line block ×4, first 2 shown]
	v_add_f16_e32 v158, v162, v159
	v_add_f16_e32 v156, v27, v157
	v_fma_f16 v158, v158, -0.5, v165
	v_sub_f16_e32 v27, v27, v162
	v_sub_f16_e32 v157, v157, v159
	v_fma_f16 v170, v156, -0.5, v165
	v_add_f16_e32 v27, v27, v157
	v_fma_f16 v157, v172, s12, v158
	v_fma_f16 v158, v172, s0, v158
	;; [unrolled: 1-line block ×12, first 2 shown]
	v_pack_b32_f16 v2, v2, v157
	v_pack_b32_f16 v0, v0, v27
	;; [unrolled: 1-line block ×3, first 2 shown]
	ds_read2_b32 v[155:156], v104 offset0:122 offset1:247
	s_waitcnt lgkmcnt(0)
	s_barrier
	ds_write2_b32 v126, v2, v0 offset0:10 offset1:15
	v_fma_f16 v0, v168, s0, v167
	v_fma_f16 v2, v171, s12, v170
	v_fma_f16 v0, v169, s1, v0
	v_fma_f16 v2, v172, s7, v2
	v_fma_f16 v0, v163, s6, v0
	v_fma_f16 v2, v164, s6, v2
	v_pack_b32_f16 v0, v0, v2
	ds_write2_b32 v126, v166, v173 offset1:5
	ds_write_b32 v126, v0 offset:80
	v_sub_f16_e32 v126, v132, v151
	v_sub_f16_e32 v157, v154, v153
	v_add_f16_e32 v0, v151, v153
	v_add_f16_e32 v2, v132, v154
	v_lshrrev_b32_e32 v27, 16, v3
	v_add_f16_e32 v126, v126, v157
	v_sub_f16_e32 v157, v125, v130
	v_sub_f16_e32 v158, v152, v150
	v_fma_f16 v0, v0, -0.5, v3
	v_fma_f16 v2, v2, -0.5, v3
	v_add_f16_e32 v3, v3, v132
	v_add_f16_e32 v157, v157, v158
	;; [unrolled: 1-line block ×10, first 2 shown]
	v_pack_b32_f16 v3, v3, v158
	v_sub_f16_e32 v158, v125, v152
	v_fma_f16 v161, v161, -0.5, v27
	v_sub_f16_e32 v162, v132, v154
	v_fma_f16 v159, v158, s12, v0
	v_sub_f16_e32 v160, v130, v150
	v_fma_f16 v163, v162, s0, v161
	;; [unrolled: 2-line block ×3, first 2 shown]
	v_fma_f16 v163, v164, s1, v163
	v_fma_f16 v159, v126, s6, v159
	;; [unrolled: 1-line block ×3, first 2 shown]
	v_pack_b32_f16 v159, v159, v163
	ds_write2_b32 v128, v3, v159 offset1:5
	v_sub_f16_e32 v3, v151, v132
	v_sub_f16_e32 v132, v153, v154
	v_add_f16_e32 v3, v3, v132
	v_fma_f16 v132, v160, s0, v2
	v_fma_f16 v2, v160, s12, v2
	;; [unrolled: 1-line block ×6, first 2 shown]
	v_add_f16_e32 v3, v125, v152
	v_fma_f16 v3, v3, -0.5, v27
	v_sub_f16_e32 v27, v130, v125
	v_sub_f16_e32 v125, v150, v152
	v_add_f16_e32 v27, v27, v125
	v_fma_f16 v125, v164, s12, v3
	v_fma_f16 v3, v164, s0, v3
	;; [unrolled: 1-line block ×6, first 2 shown]
	v_pack_b32_f16 v27, v132, v125
	v_pack_b32_f16 v2, v2, v3
	ds_write2_b32 v128, v27, v2 offset0:10 offset1:15
	v_fma_f16 v0, v158, s0, v0
	v_fma_f16 v2, v162, s12, v161
	;; [unrolled: 1-line block ×6, first 2 shown]
	v_pack_b32_f16 v0, v0, v2
	ds_write_b32 v128, v0 offset:80
	v_sub_f16_e32 v0, v78, v129
	v_sub_f16_e32 v2, v149, v124
	v_add_f16_e32 v0, v0, v2
	v_sub_f16_e32 v2, v77, v123
	v_sub_f16_e32 v3, v127, v80
	v_lshrrev_b32_e32 v27, 16, v155
	v_add_f16_e32 v2, v2, v3
	v_add_f16_e32 v3, v155, v78
	v_add_f16_e32 v125, v27, v77
	v_add_f16_e32 v3, v3, v129
	v_add_f16_e32 v125, v125, v123
	v_add_f16_e32 v3, v3, v124
	v_add_f16_e32 v125, v125, v80
	v_add_f16_e32 v3, v3, v149
	v_add_f16_e32 v125, v125, v127
	v_pack_b32_f16 v3, v3, v125
	v_add_f16_e32 v125, v129, v124
	v_add_f16_e32 v132, v123, v80
	v_fma_f16 v125, v125, -0.5, v155
	v_sub_f16_e32 v126, v77, v127
	v_fma_f16 v132, v132, -0.5, v27
	v_sub_f16_e32 v150, v78, v149
	v_fma_f16 v128, v126, s12, v125
	v_sub_f16_e32 v130, v123, v80
	v_fma_f16 v151, v150, s0, v132
	;; [unrolled: 2-line block ×3, first 2 shown]
	v_fma_f16 v151, v152, s1, v151
	v_fma_f16 v128, v0, s6, v128
	v_fma_f16 v151, v2, s6, v151
	v_pack_b32_f16 v128, v128, v151
	ds_write2_b32 v131, v3, v128 offset1:5
	v_sub_f16_e32 v3, v129, v78
	v_add_f16_e32 v78, v78, v149
	v_sub_f16_e32 v124, v124, v149
	v_fma_f16 v78, v78, -0.5, v155
	v_add_f16_e32 v3, v3, v124
	v_fma_f16 v124, v130, s0, v78
	v_fma_f16 v78, v130, s12, v78
	;; [unrolled: 1-line block ×6, first 2 shown]
	v_add_f16_e32 v78, v77, v127
	v_fma_f16 v27, v78, -0.5, v27
	v_sub_f16_e32 v77, v123, v77
	v_sub_f16_e32 v78, v80, v127
	v_add_f16_e32 v77, v77, v78
	v_fma_f16 v78, v152, s12, v27
	v_fma_f16 v27, v152, s0, v27
	;; [unrolled: 1-line block ×6, first 2 shown]
	v_pack_b32_f16 v77, v124, v78
	v_pack_b32_f16 v3, v3, v27
	ds_write2_b32 v131, v77, v3 offset0:10 offset1:15
	v_fma_f16 v3, v126, s0, v125
	v_fma_f16 v3, v130, s1, v3
	v_fma_f16 v0, v0, s6, v3
	v_fma_f16 v3, v150, s12, v132
	v_fma_f16 v3, v152, s7, v3
	v_sub_f16_e32 v77, v79, v40
	v_sub_f16_e32 v78, v42, v38
	v_fma_f16 v2, v2, s6, v3
	v_lshrrev_b32_e32 v3, 16, v156
	v_add_f16_e32 v77, v77, v78
	v_sub_f16_e32 v78, v41, v37
	v_sub_f16_e32 v80, v39, v43
	v_add_f16_e32 v27, v156, v79
	v_add_f16_e32 v78, v78, v80
	;; [unrolled: 1-line block ×5, first 2 shown]
	v_pack_b32_f16 v0, v0, v2
	v_add_f16_e32 v27, v27, v38
	v_add_f16_e32 v80, v80, v43
	ds_write_b32 v131, v0 offset:80
	v_add_f16_e32 v0, v40, v38
	v_add_f16_e32 v27, v27, v42
	;; [unrolled: 1-line block ×4, first 2 shown]
	v_fma_f16 v0, v0, -0.5, v156
	v_pack_b32_f16 v27, v27, v80
	v_sub_f16_e32 v80, v41, v39
	v_fma_f16 v125, v125, -0.5, v3
	v_sub_f16_e32 v126, v79, v42
	v_fma_f16 v123, v80, s12, v0
	v_sub_f16_e32 v124, v37, v43
	v_fma_f16 v127, v126, s0, v125
	;; [unrolled: 2-line block ×3, first 2 shown]
	v_fma_f16 v127, v128, s1, v127
	v_fma_f16 v123, v77, s6, v123
	;; [unrolled: 1-line block ×3, first 2 shown]
	v_add_f16_e32 v2, v79, v42
	v_pack_b32_f16 v123, v123, v127
	v_fma_f16 v2, v2, -0.5, v156
	ds_write2_b32 v133, v27, v123 offset1:5
	v_sub_f16_e32 v27, v40, v79
	v_sub_f16_e32 v38, v38, v42
	v_add_f16_e32 v27, v27, v38
	v_fma_f16 v38, v124, s0, v2
	v_fma_f16 v2, v124, s12, v2
	;; [unrolled: 1-line block ×6, first 2 shown]
	v_add_f16_e32 v27, v41, v39
	v_fma_f16 v3, v27, -0.5, v3
	v_sub_f16_e32 v27, v37, v41
	v_sub_f16_e32 v37, v43, v39
	v_add_f16_e32 v27, v27, v37
	v_fma_f16 v37, v128, s12, v3
	v_fma_f16 v3, v128, s0, v3
	v_fma_f16 v37, v126, s1, v37
	v_fma_f16 v3, v126, s7, v3
	v_fma_f16 v37, v27, s6, v37
	v_fma_f16 v3, v27, s6, v3
	v_pack_b32_f16 v27, v38, v37
	v_pack_b32_f16 v2, v2, v3
	ds_write2_b32 v133, v27, v2 offset0:10 offset1:15
	v_fma_f16 v0, v80, s0, v0
	v_fma_f16 v2, v126, s12, v125
	;; [unrolled: 1-line block ×6, first 2 shown]
	v_pack_b32_f16 v0, v0, v2
	v_sub_f16_e32 v27, v5, v25
	v_sub_f16_e32 v37, v36, v7
	ds_write_b32 v133, v0 offset:80
	v_add_f16_e32 v0, v25, v7
	v_add_f16_e32 v2, v5, v36
	v_lshrrev_b32_e32 v3, 16, v1
	v_add_f16_e32 v27, v27, v37
	v_sub_f16_e32 v37, v4, v26
	v_sub_f16_e32 v38, v24, v6
	v_fma_f16 v0, v0, -0.5, v1
	v_fma_f16 v2, v2, -0.5, v1
	v_add_f16_e32 v1, v1, v5
	v_add_f16_e32 v37, v37, v38
	v_add_f16_e32 v38, v3, v4
	v_add_f16_e32 v1, v1, v25
	v_add_f16_e32 v38, v38, v26
	v_add_f16_e32 v1, v1, v7
	v_add_f16_e32 v38, v38, v6
	v_add_f16_e32 v1, v1, v36
	v_add_f16_e32 v38, v38, v24
	v_add_f16_e32 v41, v26, v6
	v_pack_b32_f16 v1, v1, v38
	v_sub_f16_e32 v38, v4, v24
	v_fma_f16 v41, v41, -0.5, v3
	v_sub_f16_e32 v42, v5, v36
	v_fma_f16 v39, v38, s12, v0
	v_sub_f16_e32 v40, v26, v6
	v_fma_f16 v43, v42, s0, v41
	;; [unrolled: 2-line block ×3, first 2 shown]
	v_fma_f16 v43, v77, s1, v43
	v_fma_f16 v39, v27, s6, v39
	;; [unrolled: 1-line block ×3, first 2 shown]
	v_pack_b32_f16 v39, v39, v43
	ds_write2_b32 v134, v1, v39 offset1:5
	v_sub_f16_e32 v1, v25, v5
	v_sub_f16_e32 v5, v7, v36
	v_add_f16_e32 v1, v1, v5
	v_fma_f16 v5, v40, s0, v2
	v_fma_f16 v2, v40, s12, v2
	;; [unrolled: 1-line block ×6, first 2 shown]
	v_add_f16_e32 v2, v4, v24
	v_fma_f16 v2, v2, -0.5, v3
	v_sub_f16_e32 v3, v26, v4
	v_sub_f16_e32 v4, v6, v24
	v_add_f16_e32 v3, v3, v4
	v_fma_f16 v4, v77, s12, v2
	v_fma_f16 v2, v77, s0, v2
	;; [unrolled: 1-line block ×6, first 2 shown]
	v_pack_b32_f16 v3, v5, v4
	v_pack_b32_f16 v1, v1, v2
	ds_write2_b32 v134, v3, v1 offset0:10 offset1:15
	v_fma_f16 v0, v38, s0, v0
	v_fma_f16 v1, v42, s12, v41
	;; [unrolled: 1-line block ×6, first 2 shown]
	v_pack_b32_f16 v0, v0, v1
	ds_write_b32 v134, v0 offset:80
	s_waitcnt lgkmcnt(0)
	s_barrier
	ds_read2_b32 v[0:1], v109 offset0:110 offset1:235
	ds_read2_b32 v[126:127], v117 offset0:98 offset1:223
	ds_read_b32 v6, v81 offset:12000
	s_mov_b32 s3, 0x3f34fa6d
	s_waitcnt lgkmcnt(2)
	v_lshrrev_b32_e32 v2, 16, v0
	v_mul_f16_sdwa v3, v20, v0 dst_sel:DWORD dst_unused:UNUSED_PAD src0_sel:WORD_1 src1_sel:DWORD
	v_fma_f16 v43, v20, v2, -v3
	v_mul_f16_sdwa v2, v20, v2 dst_sel:DWORD dst_unused:UNUSED_PAD src0_sel:WORD_1 src1_sel:DWORD
	v_fma_f16 v78, v20, v0, v2
	s_waitcnt lgkmcnt(1)
	v_lshrrev_b32_e32 v0, 16, v127
	ds_read2_b32 v[2:3], v107 offset0:80 offset1:205
	v_mul_f16_sdwa v4, v21, v127 dst_sel:DWORD dst_unused:UNUSED_PAD src0_sel:WORD_1 src1_sel:DWORD
	v_fma_f16 v77, v21, v0, -v4
	v_mul_f16_sdwa v0, v21, v0 dst_sel:DWORD dst_unused:UNUSED_PAD src0_sel:WORD_1 src1_sel:DWORD
	v_fma_f16 v80, v21, v127, v0
	ds_read2_b32 v[127:128], v115 offset0:68 offset1:193
	s_waitcnt lgkmcnt(1)
	v_lshrrev_b32_e32 v0, 16, v2
	v_mul_f16_sdwa v4, v22, v2 dst_sel:DWORD dst_unused:UNUSED_PAD src0_sel:WORD_1 src1_sel:DWORD
	v_fma_f16 v79, v22, v0, -v4
	v_mul_f16_sdwa v0, v22, v0 dst_sel:DWORD dst_unused:UNUSED_PAD src0_sel:WORD_1 src1_sel:DWORD
	v_fma_f16 v124, v22, v2, v0
	s_waitcnt lgkmcnt(0)
	v_lshrrev_b32_e32 v0, 16, v128
	v_mul_f16_sdwa v2, v23, v128 dst_sel:DWORD dst_unused:UNUSED_PAD src0_sel:WORD_1 src1_sel:DWORD
	v_fma_f16 v123, v23, v0, -v2
	v_mul_f16_sdwa v0, v23, v0 dst_sel:DWORD dst_unused:UNUSED_PAD src0_sel:WORD_1 src1_sel:DWORD
	v_fma_f16 v125, v23, v128, v0
	v_lshrrev_b32_e32 v0, 16, v1
	v_mul_f16_sdwa v2, v52, v0 dst_sel:DWORD dst_unused:UNUSED_PAD src0_sel:WORD_1 src1_sel:DWORD
	v_fma_f16 v37, v52, v1, v2
	v_mul_f16_sdwa v1, v52, v1 dst_sel:DWORD dst_unused:UNUSED_PAD src0_sel:WORD_1 src1_sel:DWORD
	v_lshrrev_b32_e32 v2, 16, v3
	v_fma_f16 v27, v52, v0, -v1
	ds_read2_b32 v[0:1], v101 offset0:92 offset1:217
	v_mul_f16_sdwa v4, v54, v2 dst_sel:DWORD dst_unused:UNUSED_PAD src0_sel:WORD_1 src1_sel:DWORD
	v_fma_f16 v42, v54, v3, v4
	v_mul_f16_sdwa v3, v54, v3 dst_sel:DWORD dst_unused:UNUSED_PAD src0_sel:WORD_1 src1_sel:DWORD
	v_fma_f16 v39, v54, v2, -v3
	ds_read2_b32 v[2:3], v99 offset0:62 offset1:187
	s_waitcnt lgkmcnt(1)
	v_lshrrev_b32_e32 v4, 16, v0
	v_mul_f16_sdwa v5, v53, v0 dst_sel:DWORD dst_unused:UNUSED_PAD src0_sel:WORD_1 src1_sel:DWORD
	v_fma_f16 v41, v53, v4, -v5
	v_mul_f16_sdwa v4, v53, v4 dst_sel:DWORD dst_unused:UNUSED_PAD src0_sel:WORD_1 src1_sel:DWORD
	v_fma_f16 v53, v53, v0, v4
	s_waitcnt lgkmcnt(0)
	v_lshrrev_b32_e32 v0, 16, v2
	v_mul_f16_sdwa v4, v55, v2 dst_sel:DWORD dst_unused:UNUSED_PAD src0_sel:WORD_1 src1_sel:DWORD
	v_fma_f16 v52, v55, v0, -v4
	v_mul_f16_sdwa v0, v55, v0 dst_sel:DWORD dst_unused:UNUSED_PAD src0_sel:WORD_1 src1_sel:DWORD
	v_fma_f16 v54, v55, v2, v0
	v_lshrrev_b32_e32 v0, 16, v1
	v_mul_f16_sdwa v2, v49, v0 dst_sel:DWORD dst_unused:UNUSED_PAD src0_sel:WORD_1 src1_sel:DWORD
	v_fma_f16 v22, v49, v1, v2
	v_mul_f16_sdwa v1, v49, v1 dst_sel:DWORD dst_unused:UNUSED_PAD src0_sel:WORD_1 src1_sel:DWORD
	v_lshrrev_b32_e32 v2, 16, v3
	v_fma_f16 v20, v49, v0, -v1
	ds_read2_b32 v[0:1], v94 offset0:104 offset1:229
	v_mul_f16_sdwa v4, v51, v2 dst_sel:DWORD dst_unused:UNUSED_PAD src0_sel:WORD_1 src1_sel:DWORD
	v_fma_f16 v26, v51, v3, v4
	v_mul_f16_sdwa v3, v51, v3 dst_sel:DWORD dst_unused:UNUSED_PAD src0_sel:WORD_1 src1_sel:DWORD
	v_fma_f16 v24, v51, v2, -v3
	ds_read2_b32 v[3:4], v91 offset0:74 offset1:199
	s_waitcnt lgkmcnt(1)
	v_lshrrev_b32_e32 v2, 16, v0
	v_mul_f16_sdwa v5, v48, v0 dst_sel:DWORD dst_unused:UNUSED_PAD src0_sel:WORD_1 src1_sel:DWORD
	v_fma_f16 v25, v48, v2, -v5
	v_mul_f16_sdwa v2, v48, v2 dst_sel:DWORD dst_unused:UNUSED_PAD src0_sel:WORD_1 src1_sel:DWORD
	v_fma_f16 v38, v48, v0, v2
	s_waitcnt lgkmcnt(0)
	v_lshrrev_b32_e32 v0, 16, v3
	v_mul_f16_sdwa v2, v50, v3 dst_sel:DWORD dst_unused:UNUSED_PAD src0_sel:WORD_1 src1_sel:DWORD
	v_fma_f16 v36, v50, v0, -v2
	v_mul_f16_sdwa v0, v50, v0 dst_sel:DWORD dst_unused:UNUSED_PAD src0_sel:WORD_1 src1_sel:DWORD
	v_fma_f16 v40, v50, v3, v0
	v_lshrrev_b32_e32 v0, 16, v1
	v_mul_f16_sdwa v2, v44, v0 dst_sel:DWORD dst_unused:UNUSED_PAD src0_sel:WORD_1 src1_sel:DWORD
	v_fma_f16 v3, v44, v1, v2
	v_mul_f16_sdwa v1, v44, v1 dst_sel:DWORD dst_unused:UNUSED_PAD src0_sel:WORD_1 src1_sel:DWORD
	v_fma_f16 v2, v44, v0, -v1
	v_lshrrev_b32_e32 v0, 16, v4
	v_mul_f16_sdwa v1, v46, v0 dst_sel:DWORD dst_unused:UNUSED_PAD src0_sel:WORD_1 src1_sel:DWORD
	v_fma_f16 v5, v46, v4, v1
	v_mul_f16_sdwa v1, v46, v4 dst_sel:DWORD dst_unused:UNUSED_PAD src0_sel:WORD_1 src1_sel:DWORD
	v_fma_f16 v4, v46, v0, -v1
	ds_read2_b32 v[0:1], v116 offset0:86 offset1:211
	v_lshrrev_b32_e32 v7, 16, v6
	v_mul_f16_sdwa v21, v47, v7 dst_sel:DWORD dst_unused:UNUSED_PAD src0_sel:WORD_1 src1_sel:DWORD
	v_fma_f16 v21, v47, v6, v21
	v_mul_f16_sdwa v6, v47, v6 dst_sel:DWORD dst_unused:UNUSED_PAD src0_sel:WORD_1 src1_sel:DWORD
	v_fma_f16 v6, v47, v7, -v6
	s_waitcnt lgkmcnt(0)
	v_lshrrev_b32_e32 v23, 16, v0
	v_mul_f16_sdwa v7, v45, v0 dst_sel:DWORD dst_unused:UNUSED_PAD src0_sel:WORD_1 src1_sel:DWORD
	v_fma_f16 v7, v45, v23, -v7
	v_mul_f16_sdwa v23, v45, v23 dst_sel:DWORD dst_unused:UNUSED_PAD src0_sel:WORD_1 src1_sel:DWORD
	v_fma_f16 v23, v45, v0, v23
	v_lshrrev_b32_e32 v0, 16, v126
	v_mul_f16_sdwa v45, v9, v126 dst_sel:DWORD dst_unused:UNUSED_PAD src0_sel:WORD_1 src1_sel:DWORD
	v_mul_f16_sdwa v44, v9, v0 dst_sel:DWORD dst_unused:UNUSED_PAD src0_sel:WORD_1 src1_sel:DWORD
	v_fma_f16 v45, v9, v0, -v45
	v_lshrrev_b32_e32 v0, 16, v1
	v_fma_f16 v44, v9, v126, v44
	v_mul_f16_sdwa v9, v10, v0 dst_sel:DWORD dst_unused:UNUSED_PAD src0_sel:WORD_1 src1_sel:DWORD
	v_fma_f16 v46, v10, v1, v9
	v_mul_f16_sdwa v1, v10, v1 dst_sel:DWORD dst_unused:UNUSED_PAD src0_sel:WORD_1 src1_sel:DWORD
	v_fma_f16 v47, v10, v0, -v1
	ds_read2_b32 v[0:1], v118 offset0:116 offset1:241
	v_lshrrev_b32_e32 v9, 16, v127
	v_mul_f16_sdwa v10, v11, v9 dst_sel:DWORD dst_unused:UNUSED_PAD src0_sel:WORD_1 src1_sel:DWORD
	v_fma_f16 v48, v11, v127, v10
	v_mul_f16_sdwa v10, v11, v127 dst_sel:DWORD dst_unused:UNUSED_PAD src0_sel:WORD_1 src1_sel:DWORD
	v_fma_f16 v49, v11, v9, -v10
	s_waitcnt lgkmcnt(0)
	v_lshrrev_b32_e32 v9, 16, v1
	v_mul_f16_sdwa v10, v8, v1 dst_sel:DWORD dst_unused:UNUSED_PAD src0_sel:WORD_1 src1_sel:DWORD
	v_fma_f16 v50, v8, v9, -v10
	v_mul_f16_sdwa v9, v8, v9 dst_sel:DWORD dst_unused:UNUSED_PAD src0_sel:WORD_1 src1_sel:DWORD
	v_fma_f16 v1, v8, v1, v9
	ds_read2_b32 v[8:9], v81 offset1:125
	v_sub_f16_e32 v10, v1, v44
	v_sub_f16_e32 v11, v48, v46
	v_add_f16_e32 v51, v10, v11
	v_sub_f16_e32 v10, v50, v45
	v_sub_f16_e32 v11, v49, v47
	s_waitcnt lgkmcnt(0)
	v_lshrrev_b32_e32 v126, 16, v8
	v_add_f16_e32 v55, v10, v11
	v_add_f16_e32 v10, v8, v1
	;; [unrolled: 1-line block ×9, first 2 shown]
	v_pack_b32_f16 v127, v10, v11
	v_add_f16_e32 v10, v44, v46
	v_sub_f16_e32 v132, v1, v48
	v_sub_f16_e32 v133, v44, v46
	;; [unrolled: 1-line block ×3, first 2 shown]
	v_add_f16_e32 v1, v1, v48
	v_sub_f16_e32 v130, v45, v47
	v_fma_f16 v1, v1, -0.5, v8
	v_fma_f16 v128, v10, -0.5, v8
	v_sub_f16_e32 v129, v50, v49
	v_sub_f16_e32 v46, v46, v48
	v_fma_f16 v8, v130, s0, v1
	v_fma_f16 v1, v130, s12, v1
	v_add_f16_e32 v44, v44, v46
	v_fma_f16 v8, v129, s7, v8
	v_fma_f16 v1, v129, s1, v1
	;; [unrolled: 1-line block ×4, first 2 shown]
	v_add_f16_e32 v44, v50, v49
	v_add_f16_e32 v11, v45, v47
	v_fma_f16 v44, v44, -0.5, v126
	v_sub_f16_e32 v45, v45, v50
	v_sub_f16_e32 v46, v47, v49
	v_fma_f16 v131, v11, -0.5, v126
	v_add_f16_e32 v45, v45, v46
	v_fma_f16 v46, v133, s12, v44
	v_fma_f16 v44, v133, s0, v44
	;; [unrolled: 1-line block ×12, first 2 shown]
	v_pack_b32_f16 v8, v8, v46
	v_pack_b32_f16 v1, v1, v44
	;; [unrolled: 1-line block ×3, first 2 shown]
	ds_read2_b32 v[10:11], v104 offset0:122 offset1:247
	s_waitcnt lgkmcnt(0)
	s_barrier
	ds_write2_b32 v135, v8, v1 offset0:50 offset1:75
	v_fma_f16 v1, v129, s0, v128
	v_fma_f16 v8, v132, s12, v131
	;; [unrolled: 1-line block ×6, first 2 shown]
	v_pack_b32_f16 v1, v1, v8
	v_sub_f16_e32 v45, v78, v80
	v_sub_f16_e32 v46, v125, v124
	ds_write_b32 v135, v1 offset:400
	v_add_f16_e32 v1, v80, v124
	v_add_f16_e32 v8, v78, v125
	v_lshrrev_b32_e32 v44, 16, v9
	v_add_f16_e32 v45, v45, v46
	v_sub_f16_e32 v46, v43, v77
	v_sub_f16_e32 v47, v123, v79
	v_fma_f16 v1, v1, -0.5, v9
	v_fma_f16 v8, v8, -0.5, v9
	v_add_f16_e32 v9, v9, v78
	v_add_f16_e32 v46, v46, v47
	v_add_f16_e32 v47, v44, v43
	v_add_f16_e32 v9, v9, v80
	v_add_f16_e32 v47, v47, v77
	v_add_f16_e32 v9, v9, v124
	v_add_f16_e32 v47, v47, v79
	v_add_f16_e32 v9, v9, v125
	v_add_f16_e32 v47, v47, v123
	v_add_f16_e32 v50, v77, v79
	v_pack_b32_f16 v9, v9, v47
	v_sub_f16_e32 v47, v43, v123
	v_fma_f16 v50, v50, -0.5, v44
	v_sub_f16_e32 v51, v78, v125
	v_fma_f16 v48, v47, s12, v1
	v_sub_f16_e32 v49, v77, v79
	v_fma_f16 v55, v51, s0, v50
	;; [unrolled: 2-line block ×3, first 2 shown]
	v_fma_f16 v55, v126, s1, v55
	v_fma_f16 v48, v45, s6, v48
	;; [unrolled: 1-line block ×3, first 2 shown]
	v_pack_b32_f16 v48, v48, v55
	ds_write2_b32 v135, v127, v134 offset1:25
	ds_write2_b32 v136, v9, v48 offset1:25
	v_sub_f16_e32 v9, v80, v78
	v_sub_f16_e32 v48, v124, v125
	v_add_f16_e32 v9, v9, v48
	v_fma_f16 v48, v49, s0, v8
	v_fma_f16 v8, v49, s12, v8
	;; [unrolled: 1-line block ×6, first 2 shown]
	v_add_f16_e32 v9, v43, v123
	v_fma_f16 v9, v9, -0.5, v44
	v_sub_f16_e32 v43, v77, v43
	v_sub_f16_e32 v44, v79, v123
	v_add_f16_e32 v43, v43, v44
	v_fma_f16 v44, v126, s12, v9
	v_fma_f16 v9, v126, s0, v9
	;; [unrolled: 1-line block ×6, first 2 shown]
	v_pack_b32_f16 v43, v48, v44
	v_pack_b32_f16 v8, v8, v9
	ds_write2_b32 v136, v43, v8 offset0:50 offset1:75
	v_fma_f16 v1, v47, s0, v1
	v_fma_f16 v8, v51, s12, v50
	;; [unrolled: 1-line block ×6, first 2 shown]
	v_pack_b32_f16 v1, v1, v8
	ds_write_b32 v136, v1 offset:400
	v_sub_f16_e32 v1, v37, v53
	v_sub_f16_e32 v8, v54, v42
	v_add_f16_e32 v1, v1, v8
	v_sub_f16_e32 v8, v27, v41
	v_sub_f16_e32 v9, v52, v39
	v_lshrrev_b32_e32 v43, 16, v10
	v_add_f16_e32 v8, v8, v9
	v_add_f16_e32 v9, v10, v37
	;; [unrolled: 1-line block ×9, first 2 shown]
	v_pack_b32_f16 v9, v9, v44
	v_add_f16_e32 v44, v53, v42
	v_add_f16_e32 v48, v41, v39
	v_fma_f16 v44, v44, -0.5, v10
	v_sub_f16_e32 v45, v27, v52
	v_fma_f16 v48, v48, -0.5, v43
	v_sub_f16_e32 v49, v37, v54
	v_fma_f16 v46, v45, s12, v44
	v_sub_f16_e32 v47, v41, v39
	v_fma_f16 v50, v49, s0, v48
	;; [unrolled: 2-line block ×3, first 2 shown]
	v_fma_f16 v50, v51, s1, v50
	v_fma_f16 v46, v1, s6, v46
	;; [unrolled: 1-line block ×3, first 2 shown]
	v_pack_b32_f16 v46, v46, v50
	ds_write2_b32 v138, v9, v46 offset1:25
	v_sub_f16_e32 v9, v53, v37
	v_add_f16_e32 v37, v37, v54
	v_fma_f16 v10, v37, -0.5, v10
	v_sub_f16_e32 v42, v42, v54
	v_fma_f16 v37, v47, s0, v10
	v_fma_f16 v10, v47, s12, v10
	v_add_f16_e32 v9, v9, v42
	v_fma_f16 v37, v45, s7, v37
	v_fma_f16 v10, v45, s1, v10
	;; [unrolled: 1-line block ×4, first 2 shown]
	v_add_f16_e32 v10, v27, v52
	v_fma_f16 v10, v10, -0.5, v43
	v_sub_f16_e32 v27, v41, v27
	v_sub_f16_e32 v39, v39, v52
	v_add_f16_e32 v27, v27, v39
	v_fma_f16 v39, v51, s12, v10
	v_fma_f16 v10, v51, s0, v10
	;; [unrolled: 1-line block ×6, first 2 shown]
	v_pack_b32_f16 v27, v37, v39
	v_pack_b32_f16 v9, v9, v10
	ds_write2_b32 v138, v27, v9 offset0:50 offset1:75
	v_fma_f16 v9, v45, s0, v44
	v_fma_f16 v9, v47, s1, v9
	;; [unrolled: 1-line block ×6, first 2 shown]
	v_pack_b32_f16 v1, v1, v8
	ds_write_b32 v138, v1 offset:400
	v_add_f16_e32 v1, v22, v40
	v_add_f16_e32 v8, v38, v26
	v_fma_f16 v1, v1, -0.5, v11
	v_fma_f16 v8, v8, -0.5, v11
	v_lshrrev_b32_e32 v9, 16, v11
	v_add_f16_e32 v10, v11, v38
	v_sub_f16_e32 v11, v38, v22
	v_sub_f16_e32 v27, v26, v40
	v_add_f16_e32 v11, v11, v27
	v_sub_f16_e32 v27, v25, v20
	v_sub_f16_e32 v37, v24, v36
	v_add_f16_e32 v27, v27, v37
	v_add_f16_e32 v37, v9, v25
	;; [unrolled: 1-line block ×9, first 2 shown]
	v_pack_b32_f16 v10, v10, v37
	v_sub_f16_e32 v37, v25, v24
	v_fma_f16 v42, v42, -0.5, v9
	v_sub_f16_e32 v43, v38, v26
	v_fma_f16 v39, v37, s12, v1
	v_sub_f16_e32 v41, v20, v36
	v_fma_f16 v44, v43, s0, v42
	;; [unrolled: 2-line block ×3, first 2 shown]
	v_fma_f16 v44, v45, s1, v44
	v_fma_f16 v39, v11, s6, v39
	v_fma_f16 v44, v27, s6, v44
	v_pack_b32_f16 v39, v39, v44
	ds_write2_b32 v140, v10, v39 offset1:25
	v_sub_f16_e32 v10, v22, v38
	v_sub_f16_e32 v22, v40, v26
	v_add_f16_e32 v10, v10, v22
	v_fma_f16 v22, v41, s0, v8
	v_fma_f16 v8, v41, s12, v8
	v_fma_f16 v22, v37, s7, v22
	v_fma_f16 v8, v37, s1, v8
	v_fma_f16 v22, v10, s6, v22
	v_fma_f16 v8, v10, s6, v8
	v_add_f16_e32 v10, v25, v24
	v_fma_f16 v9, v10, -0.5, v9
	v_sub_f16_e32 v10, v20, v25
	v_sub_f16_e32 v20, v36, v24
	v_add_f16_e32 v10, v10, v20
	v_fma_f16 v20, v45, s12, v9
	v_fma_f16 v9, v45, s0, v9
	;; [unrolled: 1-line block ×6, first 2 shown]
	v_pack_b32_f16 v10, v22, v20
	v_pack_b32_f16 v8, v8, v9
	ds_write2_b32 v140, v10, v8 offset0:50 offset1:75
	v_fma_f16 v1, v37, s0, v1
	v_fma_f16 v8, v43, s12, v42
	v_fma_f16 v1, v41, s1, v1
	v_fma_f16 v8, v45, s7, v8
	v_fma_f16 v1, v11, s6, v1
	v_fma_f16 v8, v27, s6, v8
	v_pack_b32_f16 v1, v1, v8
	v_sub_f16_e32 v10, v3, v23
	v_sub_f16_e32 v11, v21, v5
	ds_write_b32 v140, v1 offset:400
	v_add_f16_e32 v1, v23, v5
	v_add_f16_e32 v8, v3, v21
	v_lshrrev_b32_e32 v9, 16, v0
	v_add_f16_e32 v10, v10, v11
	v_sub_f16_e32 v11, v2, v7
	v_sub_f16_e32 v20, v6, v4
	v_fma_f16 v1, v1, -0.5, v0
	v_fma_f16 v8, v8, -0.5, v0
	v_add_f16_e32 v0, v0, v3
	v_add_f16_e32 v11, v11, v20
	;; [unrolled: 1-line block ×10, first 2 shown]
	v_pack_b32_f16 v0, v0, v20
	v_sub_f16_e32 v20, v2, v6
	v_fma_f16 v25, v25, -0.5, v9
	v_sub_f16_e32 v26, v3, v21
	v_fma_f16 v22, v20, s12, v1
	v_sub_f16_e32 v24, v7, v4
	v_fma_f16 v27, v26, s0, v25
	;; [unrolled: 2-line block ×3, first 2 shown]
	v_fma_f16 v27, v36, s1, v27
	v_fma_f16 v22, v10, s6, v22
	v_fma_f16 v27, v11, s6, v27
	v_pack_b32_f16 v22, v22, v27
	ds_write2_b32 v141, v0, v22 offset1:25
	v_sub_f16_e32 v0, v23, v3
	v_sub_f16_e32 v3, v5, v21
	v_add_f16_e32 v0, v0, v3
	v_fma_f16 v3, v24, s0, v8
	v_fma_f16 v5, v24, s12, v8
	;; [unrolled: 1-line block ×6, first 2 shown]
	v_add_f16_e32 v5, v2, v6
	v_fma_f16 v5, v5, -0.5, v9
	v_sub_f16_e32 v2, v7, v2
	v_sub_f16_e32 v4, v4, v6
	v_add_f16_e32 v2, v2, v4
	v_fma_f16 v4, v36, s12, v5
	v_fma_f16 v5, v36, s0, v5
	;; [unrolled: 1-line block ×6, first 2 shown]
	v_pack_b32_f16 v3, v3, v4
	v_pack_b32_f16 v0, v0, v2
	ds_write2_b32 v141, v3, v0 offset0:50 offset1:75
	v_fma_f16 v0, v20, s0, v1
	v_fma_f16 v1, v26, s12, v25
	;; [unrolled: 1-line block ×6, first 2 shown]
	v_pack_b32_f16 v0, v0, v1
	ds_write_b32 v141, v0 offset:400
	s_waitcnt lgkmcnt(0)
	s_barrier
	ds_read2_b32 v[0:1], v109 offset0:110 offset1:235
	ds_read2_b32 v[2:3], v101 offset0:92 offset1:217
	;; [unrolled: 1-line block ×3, first 2 shown]
	ds_read_b32 v10, v81 offset:12000
	s_waitcnt lgkmcnt(3)
	v_lshrrev_b32_e32 v4, 16, v1
	v_mul_f16_sdwa v5, v32, v1 dst_sel:DWORD dst_unused:UNUSED_PAD src0_sel:WORD_1 src1_sel:DWORD
	v_fma_f16 v5, v32, v4, -v5
	v_mul_f16_sdwa v4, v32, v4 dst_sel:DWORD dst_unused:UNUSED_PAD src0_sel:WORD_1 src1_sel:DWORD
	v_fma_f16 v9, v32, v1, v4
	s_waitcnt lgkmcnt(2)
	v_lshrrev_b32_e32 v1, 16, v2
	v_mul_f16_sdwa v4, v33, v2 dst_sel:DWORD dst_unused:UNUSED_PAD src0_sel:WORD_1 src1_sel:DWORD
	v_fma_f16 v11, v33, v1, -v4
	v_mul_f16_sdwa v1, v33, v1 dst_sel:DWORD dst_unused:UNUSED_PAD src0_sel:WORD_1 src1_sel:DWORD
	v_fma_f16 v24, v33, v2, v1
	ds_read2_b32 v[1:2], v99 offset0:62 offset1:187
	s_waitcnt lgkmcnt(2)
	v_lshrrev_b32_e32 v4, 16, v39
	v_mul_f16_sdwa v6, v34, v39 dst_sel:DWORD dst_unused:UNUSED_PAD src0_sel:WORD_1 src1_sel:DWORD
	v_fma_f16 v26, v34, v4, -v6
	v_mul_f16_sdwa v4, v34, v4 dst_sel:DWORD dst_unused:UNUSED_PAD src0_sel:WORD_1 src1_sel:DWORD
	v_fma_f16 v36, v34, v39, v4
	s_waitcnt lgkmcnt(0)
	v_lshrrev_b32_e32 v4, 16, v1
	v_mul_f16_sdwa v6, v35, v1 dst_sel:DWORD dst_unused:UNUSED_PAD src0_sel:WORD_1 src1_sel:DWORD
	v_fma_f16 v33, v35, v4, -v6
	v_mul_f16_sdwa v4, v35, v4 dst_sel:DWORD dst_unused:UNUSED_PAD src0_sel:WORD_1 src1_sel:DWORD
	v_fma_f16 v37, v35, v1, v4
	v_lshrrev_b32_e32 v1, 16, v3
	v_mul_f16_sdwa v4, v61, v1 dst_sel:DWORD dst_unused:UNUSED_PAD src0_sel:WORD_1 src1_sel:DWORD
	v_fma_f16 v7, v61, v3, v4
	v_mul_f16_sdwa v3, v61, v3 dst_sel:DWORD dst_unused:UNUSED_PAD src0_sel:WORD_1 src1_sel:DWORD
	v_fma_f16 v6, v61, v1, -v3
	ds_read2_b32 v[3:4], v94 offset0:104 offset1:229
	v_lshrrev_b32_e32 v1, 16, v2
	ds_read2_b32 v[39:40], v91 offset0:74 offset1:199
	v_mul_f16_sdwa v8, v63, v1 dst_sel:DWORD dst_unused:UNUSED_PAD src0_sel:WORD_1 src1_sel:DWORD
	v_fma_f16 v22, v63, v2, v8
	v_mul_f16_sdwa v2, v63, v2 dst_sel:DWORD dst_unused:UNUSED_PAD src0_sel:WORD_1 src1_sel:DWORD
	v_fma_f16 v20, v63, v1, -v2
	s_waitcnt lgkmcnt(1)
	v_lshrrev_b32_e32 v1, 16, v3
	v_mul_f16_sdwa v2, v60, v3 dst_sel:DWORD dst_unused:UNUSED_PAD src0_sel:WORD_1 src1_sel:DWORD
	v_fma_f16 v25, v60, v1, -v2
	v_mul_f16_sdwa v1, v60, v1 dst_sel:DWORD dst_unused:UNUSED_PAD src0_sel:WORD_1 src1_sel:DWORD
	v_fma_f16 v34, v60, v3, v1
	s_waitcnt lgkmcnt(0)
	v_lshrrev_b32_e32 v1, 16, v39
	v_mul_f16_sdwa v2, v62, v39 dst_sel:DWORD dst_unused:UNUSED_PAD src0_sel:WORD_1 src1_sel:DWORD
	v_fma_f16 v32, v62, v1, -v2
	v_mul_f16_sdwa v1, v62, v1 dst_sel:DWORD dst_unused:UNUSED_PAD src0_sel:WORD_1 src1_sel:DWORD
	v_fma_f16 v35, v62, v39, v1
	v_lshrrev_b32_e32 v1, 16, v4
	v_mul_f16_sdwa v2, v56, v1 dst_sel:DWORD dst_unused:UNUSED_PAD src0_sel:WORD_1 src1_sel:DWORD
	v_fma_f16 v3, v56, v4, v2
	v_mul_f16_sdwa v2, v56, v4 dst_sel:DWORD dst_unused:UNUSED_PAD src0_sel:WORD_1 src1_sel:DWORD
	v_fma_f16 v2, v56, v1, -v2
	v_lshrrev_b32_e32 v1, 16, v40
	v_mul_f16_sdwa v4, v58, v1 dst_sel:DWORD dst_unused:UNUSED_PAD src0_sel:WORD_1 src1_sel:DWORD
	v_fma_f16 v8, v58, v40, v4
	v_mul_f16_sdwa v4, v58, v40 dst_sel:DWORD dst_unused:UNUSED_PAD src0_sel:WORD_1 src1_sel:DWORD
	ds_read2_b32 v[39:40], v116 offset0:86 offset1:211
	v_fma_f16 v4, v58, v1, -v4
	v_lshrrev_b32_e32 v1, 16, v10
	v_mul_f16_sdwa v21, v59, v1 dst_sel:DWORD dst_unused:UNUSED_PAD src0_sel:WORD_1 src1_sel:DWORD
	v_fma_f16 v23, v59, v10, v21
	v_mul_f16_sdwa v10, v59, v10 dst_sel:DWORD dst_unused:UNUSED_PAD src0_sel:WORD_1 src1_sel:DWORD
	v_fma_f16 v10, v59, v1, -v10
	s_waitcnt lgkmcnt(0)
	v_lshrrev_b32_e32 v1, 16, v39
	v_mul_f16_sdwa v21, v57, v39 dst_sel:DWORD dst_unused:UNUSED_PAD src0_sel:WORD_1 src1_sel:DWORD
	v_fma_f16 v21, v57, v1, -v21
	v_mul_f16_sdwa v1, v57, v1 dst_sel:DWORD dst_unused:UNUSED_PAD src0_sel:WORD_1 src1_sel:DWORD
	v_fma_f16 v27, v57, v39, v1
	v_lshrrev_b32_e32 v1, 16, v40
	v_mul_f16_sdwa v39, v18, v1 dst_sel:DWORD dst_unused:UNUSED_PAD src0_sel:WORD_1 src1_sel:DWORD
	v_fma_f16 v41, v18, v40, v39
	v_mul_f16_sdwa v39, v18, v40 dst_sel:DWORD dst_unused:UNUSED_PAD src0_sel:WORD_1 src1_sel:DWORD
	v_fma_f16 v42, v18, v1, -v39
	ds_read2_b32 v[39:40], v117 offset0:98 offset1:223
	v_lshrrev_b32_e32 v1, 16, v0
	v_mul_f16_sdwa v43, v16, v1 dst_sel:DWORD dst_unused:UNUSED_PAD src0_sel:WORD_1 src1_sel:DWORD
	v_fma_f16 v43, v16, v0, v43
	v_mul_f16_sdwa v0, v16, v0 dst_sel:DWORD dst_unused:UNUSED_PAD src0_sel:WORD_1 src1_sel:DWORD
	v_fma_f16 v44, v16, v1, -v0
	s_waitcnt lgkmcnt(0)
	v_lshrrev_b32_e32 v0, 16, v39
	v_mul_f16_sdwa v1, v17, v39 dst_sel:DWORD dst_unused:UNUSED_PAD src0_sel:WORD_1 src1_sel:DWORD
	v_fma_f16 v45, v17, v0, -v1
	v_mul_f16_sdwa v0, v17, v0 dst_sel:DWORD dst_unused:UNUSED_PAD src0_sel:WORD_1 src1_sel:DWORD
	v_fma_f16 v46, v17, v39, v0
	v_lshrrev_b32_e32 v0, 16, v40
	v_mul_f16_sdwa v1, v17, v0 dst_sel:DWORD dst_unused:UNUSED_PAD src0_sel:WORD_1 src1_sel:DWORD
	v_fma_f16 v47, v17, v40, v1
	v_mul_f16_sdwa v1, v17, v40 dst_sel:DWORD dst_unused:UNUSED_PAD src0_sel:WORD_1 src1_sel:DWORD
	ds_read2_b32 v[39:40], v115 offset0:68 offset1:193
	v_fma_f16 v48, v17, v0, -v1
	v_lshrrev_b32_e32 v0, 16, v38
	v_mul_f16_sdwa v1, v18, v0 dst_sel:DWORD dst_unused:UNUSED_PAD src0_sel:WORD_1 src1_sel:DWORD
	v_fma_f16 v49, v18, v38, v1
	v_mul_f16_sdwa v1, v18, v38 dst_sel:DWORD dst_unused:UNUSED_PAD src0_sel:WORD_1 src1_sel:DWORD
	v_fma_f16 v38, v18, v0, -v1
	s_waitcnt lgkmcnt(0)
	v_lshrrev_b32_e32 v0, 16, v39
	v_mul_f16_sdwa v1, v19, v39 dst_sel:DWORD dst_unused:UNUSED_PAD src0_sel:WORD_1 src1_sel:DWORD
	v_fma_f16 v50, v19, v0, -v1
	v_mul_f16_sdwa v0, v19, v0 dst_sel:DWORD dst_unused:UNUSED_PAD src0_sel:WORD_1 src1_sel:DWORD
	v_fma_f16 v39, v19, v39, v0
	ds_read2_b32 v[0:1], v118 offset0:116 offset1:241
	v_lshrrev_b32_e32 v17, 16, v40
	v_mul_f16_sdwa v18, v19, v17 dst_sel:DWORD dst_unused:UNUSED_PAD src0_sel:WORD_1 src1_sel:DWORD
	v_fma_f16 v51, v19, v40, v18
	v_mul_f16_sdwa v18, v19, v40 dst_sel:DWORD dst_unused:UNUSED_PAD src0_sel:WORD_1 src1_sel:DWORD
	v_fma_f16 v40, v19, v17, -v18
	s_waitcnt lgkmcnt(0)
	v_lshrrev_b32_e32 v17, 16, v1
	v_mul_f16_sdwa v18, v16, v1 dst_sel:DWORD dst_unused:UNUSED_PAD src0_sel:WORD_1 src1_sel:DWORD
	v_fma_f16 v52, v16, v17, -v18
	v_mul_f16_sdwa v17, v16, v17 dst_sel:DWORD dst_unused:UNUSED_PAD src0_sel:WORD_1 src1_sel:DWORD
	v_fma_f16 v1, v16, v1, v17
	ds_read2_b32 v[16:17], v81 offset1:125
	v_sub_f16_e32 v18, v1, v46
	v_sub_f16_e32 v19, v39, v41
	v_add_f16_e32 v53, v18, v19
	v_sub_f16_e32 v18, v52, v45
	v_sub_f16_e32 v19, v50, v42
	s_waitcnt lgkmcnt(0)
	v_lshrrev_b32_e32 v55, 16, v16
	v_add_f16_e32 v54, v18, v19
	v_add_f16_e32 v18, v16, v1
	;; [unrolled: 1-line block ×9, first 2 shown]
	v_pack_b32_f16 v56, v18, v19
	v_add_f16_e32 v18, v46, v41
	v_sub_f16_e32 v61, v1, v39
	v_sub_f16_e32 v62, v46, v41
	v_sub_f16_e32 v46, v46, v1
	v_add_f16_e32 v1, v1, v39
	v_sub_f16_e32 v59, v45, v42
	v_fma_f16 v1, v1, -0.5, v16
	v_fma_f16 v57, v18, -0.5, v16
	v_sub_f16_e32 v58, v52, v50
	v_sub_f16_e32 v39, v41, v39
	v_fma_f16 v16, v59, s0, v1
	v_fma_f16 v1, v59, s12, v1
	v_add_f16_e32 v39, v46, v39
	v_fma_f16 v16, v58, s7, v16
	v_fma_f16 v1, v58, s1, v1
	v_add_f16_e32 v19, v45, v42
	;; [unrolled: 3-line block ×3, first 2 shown]
	v_fma_f16 v60, v19, -0.5, v55
	v_fma_f16 v39, v39, -0.5, v55
	v_sub_f16_e32 v41, v45, v52
	v_sub_f16_e32 v42, v42, v50
	v_fma_f16 v18, v58, s12, v57
	v_fma_f16 v19, v61, s0, v60
	v_add_f16_e32 v41, v41, v42
	v_fma_f16 v42, v62, s12, v39
	v_fma_f16 v39, v62, s0, v39
	;; [unrolled: 1-line block ×10, first 2 shown]
	v_pack_b32_f16 v63, v18, v19
	v_pack_b32_f16 v16, v16, v42
	;; [unrolled: 1-line block ×3, first 2 shown]
	ds_read2_b32 v[18:19], v104 offset0:122 offset1:247
	s_waitcnt lgkmcnt(0)
	s_barrier
	ds_write2_b32 v81, v56, v63 offset1:125
	ds_write2_b32 v104, v16, v1 offset0:122 offset1:247
	v_fma_f16 v1, v58, s0, v57
	v_fma_f16 v16, v61, s12, v60
	;; [unrolled: 1-line block ×4, first 2 shown]
	v_add_f16_e32 v39, v47, v49
	v_add_f16_e32 v41, v43, v51
	v_fma_f16 v1, v53, s6, v1
	v_fma_f16 v16, v54, s6, v16
	v_fma_f16 v39, v39, -0.5, v17
	v_fma_f16 v41, v41, -0.5, v17
	v_lshrrev_b32_e32 v42, 16, v17
	v_add_f16_e32 v17, v17, v43
	v_pack_b32_f16 v1, v1, v16
	v_add_f16_e32 v16, v17, v47
	v_add_f16_e32 v17, v42, v44
	;; [unrolled: 1-line block ×7, first 2 shown]
	v_pack_b32_f16 v16, v16, v17
	ds_write2_b32 v118, v1, v16 offset0:116 offset1:241
	v_sub_f16_e32 v1, v43, v47
	v_sub_f16_e32 v16, v51, v49
	v_add_f16_e32 v1, v1, v16
	v_sub_f16_e32 v16, v47, v43
	v_sub_f16_e32 v17, v49, v51
	;; [unrolled: 1-line block ×4, first 2 shown]
	v_add_f16_e32 v16, v16, v17
	v_sub_f16_e32 v17, v43, v51
	v_sub_f16_e32 v43, v47, v49
	v_add_f16_e32 v45, v45, v46
	v_add_f16_e32 v46, v48, v38
	v_add_f16_e32 v47, v44, v40
	v_fma_f16 v46, v46, -0.5, v42
	v_fma_f16 v42, v47, -0.5, v42
	v_sub_f16_e32 v47, v44, v40
	v_sub_f16_e32 v44, v48, v44
	;; [unrolled: 1-line block ×4, first 2 shown]
	v_add_f16_e32 v38, v44, v38
	v_fma_f16 v40, v47, s12, v39
	v_fma_f16 v44, v17, s0, v46
	;; [unrolled: 1-line block ×6, first 2 shown]
	v_pack_b32_f16 v40, v40, v44
	v_fma_f16 v44, v48, s0, v41
	v_fma_f16 v49, v43, s12, v42
	;; [unrolled: 1-line block ×10, first 2 shown]
	v_pack_b32_f16 v44, v44, v49
	v_fma_f16 v39, v47, s1, v39
	ds_write2_b32 v109, v40, v44 offset0:110 offset1:235
	v_fma_f16 v16, v16, s6, v39
	v_fma_f16 v39, v17, s12, v46
	;; [unrolled: 1-line block ×7, first 2 shown]
	v_pack_b32_f16 v16, v16, v17
	v_pack_b32_f16 v1, v1, v39
	ds_write2_b32 v94, v16, v1 offset0:104 offset1:229
	v_sub_f16_e32 v1, v9, v24
	v_sub_f16_e32 v16, v37, v36
	v_add_f16_e32 v1, v1, v16
	v_sub_f16_e32 v16, v5, v11
	v_sub_f16_e32 v17, v33, v26
	v_lshrrev_b32_e32 v38, 16, v18
	v_add_f16_e32 v16, v16, v17
	v_add_f16_e32 v17, v18, v9
	;; [unrolled: 1-line block ×9, first 2 shown]
	v_pack_b32_f16 v17, v17, v39
	v_add_f16_e32 v39, v24, v36
	v_add_f16_e32 v43, v11, v26
	v_fma_f16 v39, v39, -0.5, v18
	v_sub_f16_e32 v40, v5, v33
	v_fma_f16 v43, v43, -0.5, v38
	v_sub_f16_e32 v44, v9, v37
	v_fma_f16 v41, v40, s12, v39
	v_sub_f16_e32 v42, v11, v26
	v_fma_f16 v45, v44, s0, v43
	;; [unrolled: 2-line block ×3, first 2 shown]
	v_fma_f16 v45, v46, s1, v45
	v_fma_f16 v41, v1, s6, v41
	;; [unrolled: 1-line block ×3, first 2 shown]
	v_pack_b32_f16 v41, v41, v45
	ds_write2_b32 v142, v17, v41 offset0:98 offset1:223
	v_sub_f16_e32 v17, v24, v9
	v_add_f16_e32 v9, v9, v37
	v_fma_f16 v9, v9, -0.5, v18
	v_sub_f16_e32 v24, v36, v37
	v_fma_f16 v18, v42, s0, v9
	v_fma_f16 v9, v42, s12, v9
	v_add_f16_e32 v17, v17, v24
	v_fma_f16 v18, v40, s7, v18
	v_fma_f16 v9, v40, s1, v9
	;; [unrolled: 1-line block ×4, first 2 shown]
	v_add_f16_e32 v17, v5, v33
	v_fma_f16 v17, v17, -0.5, v38
	v_sub_f16_e32 v5, v11, v5
	v_sub_f16_e32 v11, v26, v33
	v_add_f16_e32 v5, v5, v11
	v_fma_f16 v11, v46, s12, v17
	v_fma_f16 v17, v46, s0, v17
	;; [unrolled: 1-line block ×6, first 2 shown]
	v_pack_b32_f16 v11, v18, v11
	v_pack_b32_f16 v5, v9, v5
	ds_write2_b32 v143, v11, v5 offset0:92 offset1:217
	v_sub_f16_e32 v5, v34, v7
	v_sub_f16_e32 v9, v22, v35
	v_add_f16_e32 v5, v5, v9
	v_sub_f16_e32 v9, v25, v6
	v_sub_f16_e32 v11, v20, v32
	v_lshrrev_b32_e32 v17, 16, v19
	v_add_f16_e32 v9, v9, v11
	v_add_f16_e32 v11, v19, v34
	;; [unrolled: 1-line block ×9, first 2 shown]
	v_pack_b32_f16 v11, v11, v18
	v_add_f16_e32 v18, v7, v35
	v_add_f16_e32 v36, v6, v32
	v_fma_f16 v18, v18, -0.5, v19
	v_sub_f16_e32 v24, v25, v20
	v_fma_f16 v36, v36, -0.5, v17
	v_sub_f16_e32 v37, v34, v22
	v_fma_f16 v26, v24, s12, v18
	v_sub_f16_e32 v33, v6, v32
	v_fma_f16 v38, v37, s0, v36
	;; [unrolled: 2-line block ×3, first 2 shown]
	v_fma_f16 v38, v41, s1, v38
	v_fma_f16 v26, v5, s6, v26
	;; [unrolled: 1-line block ×3, first 2 shown]
	v_pack_b32_f16 v26, v26, v38
	ds_write2_b32 v147, v11, v26 offset0:83 offset1:208
	v_add_f16_e32 v11, v34, v22
	v_fma_f16 v11, v11, -0.5, v19
	v_sub_f16_e32 v7, v7, v34
	v_sub_f16_e32 v19, v35, v22
	v_add_f16_e32 v7, v7, v19
	v_fma_f16 v19, v33, s0, v11
	v_fma_f16 v11, v33, s12, v11
	;; [unrolled: 1-line block ×6, first 2 shown]
	v_add_f16_e32 v11, v25, v20
	v_fma_f16 v11, v11, -0.5, v17
	v_sub_f16_e32 v6, v6, v25
	v_sub_f16_e32 v17, v32, v20
	v_add_f16_e32 v6, v6, v17
	v_fma_f16 v17, v41, s12, v11
	v_fma_f16 v11, v41, s0, v11
	;; [unrolled: 1-line block ×6, first 2 shown]
	v_pack_b32_f16 v11, v19, v17
	v_pack_b32_f16 v6, v7, v6
	ds_write2_b32 v146, v11, v6 offset0:77 offset1:202
	v_fma_f16 v6, v40, s0, v39
	v_fma_f16 v6, v42, s1, v6
	;; [unrolled: 1-line block ×6, first 2 shown]
	v_pack_b32_f16 v1, v1, v6
	v_add_f16_e32 v6, v27, v8
	v_sub_f16_e32 v11, v3, v27
	v_sub_f16_e32 v16, v23, v8
	v_fma_f16 v6, v6, -0.5, v0
	v_add_f16_e32 v11, v11, v16
	v_sub_f16_e32 v16, v2, v10
	ds_write_b32 v137, v1 offset:7000
	v_fma_f16 v1, v24, s0, v18
	v_fma_f16 v17, v16, s12, v6
	v_sub_f16_e32 v18, v21, v4
	v_fma_f16 v6, v16, s0, v6
	v_add_f16_e32 v7, v3, v23
	v_fma_f16 v17, v18, s7, v17
	v_fma_f16 v6, v18, s1, v6
	v_fma_f16 v7, v7, -0.5, v0
	v_fma_f16 v17, v11, s6, v17
	v_fma_f16 v6, v11, s6, v6
	v_sub_f16_e32 v11, v27, v3
	v_sub_f16_e32 v19, v8, v23
	v_fma_f16 v1, v33, s1, v1
	v_add_f16_e32 v11, v11, v19
	v_fma_f16 v19, v18, s0, v7
	v_fma_f16 v7, v18, s12, v7
	;; [unrolled: 1-line block ×9, first 2 shown]
	v_sub_f16_e32 v11, v2, v21
	v_sub_f16_e32 v18, v10, v4
	v_fma_f16 v5, v9, s6, v5
	v_lshrrev_b32_e32 v9, 16, v0
	v_add_f16_e32 v0, v0, v3
	v_add_f16_e32 v11, v11, v18
	;; [unrolled: 1-line block ×4, first 2 shown]
	v_sub_f16_e32 v3, v3, v23
	v_fma_f16 v18, v18, -0.5, v9
	v_add_f16_e32 v0, v0, v8
	v_sub_f16_e32 v8, v27, v8
	v_fma_f16 v19, v3, s0, v18
	v_fma_f16 v18, v3, s12, v18
	;; [unrolled: 1-line block ×6, first 2 shown]
	v_add_f16_e32 v18, v2, v10
	v_fma_f16 v18, v18, -0.5, v9
	v_add_f16_e32 v9, v9, v2
	v_add_f16_e32 v9, v9, v21
	v_sub_f16_e32 v2, v21, v2
	v_add_f16_e32 v9, v9, v4
	v_sub_f16_e32 v4, v4, v10
	v_add_f16_e32 v2, v2, v4
	v_fma_f16 v4, v8, s12, v18
	v_fma_f16 v8, v8, s0, v18
	v_add_f16_e32 v0, v0, v23
	v_add_f16_e32 v9, v9, v10
	v_fma_f16 v4, v3, s1, v4
	v_fma_f16 v3, v3, s7, v8
	v_pack_b32_f16 v1, v1, v5
	v_fma_f16 v4, v2, s6, v4
	v_fma_f16 v2, v2, s6, v3
	ds_write_b32 v139, v1 offset:9500
	v_pack_b32_f16 v0, v0, v9
	v_pack_b32_f16 v1, v17, v19
	ds_write2_b32 v145, v0, v1 offset0:68 offset1:193
	v_pack_b32_f16 v0, v16, v4
	v_pack_b32_f16 v1, v7, v2
	ds_write2_b32 v148, v0, v1 offset0:62 offset1:187
	v_pack_b32_f16 v0, v6, v11
	ds_write_b32 v144, v0 offset:12000
	s_waitcnt lgkmcnt(0)
	s_barrier
	ds_read2_b32 v[0:1], v109 offset0:110 offset1:235
	ds_read2_b32 v[38:39], v117 offset0:98 offset1:223
	;; [unrolled: 1-line block ×4, first 2 shown]
	ds_read_b32 v11, v81 offset:12000
	s_waitcnt lgkmcnt(4)
	v_lshrrev_b32_e32 v4, 16, v0
	v_mul_f16_sdwa v8, v28, v4 dst_sel:DWORD dst_unused:UNUSED_PAD src0_sel:WORD_1 src1_sel:DWORD
	s_waitcnt lgkmcnt(3)
	v_lshrrev_b32_e32 v5, 16, v39
	v_fma_f16 v33, v28, v0, v8
	v_mul_f16_sdwa v0, v28, v0 dst_sel:DWORD dst_unused:UNUSED_PAD src0_sel:WORD_1 src1_sel:DWORD
	v_fma_f16 v25, v28, v4, -v0
	v_mul_f16_sdwa v0, v29, v5 dst_sel:DWORD dst_unused:UNUSED_PAD src0_sel:WORD_1 src1_sel:DWORD
	s_waitcnt lgkmcnt(2)
	v_lshrrev_b32_e32 v6, 16, v2
	v_fma_f16 v34, v29, v39, v0
	v_mul_f16_sdwa v0, v29, v39 dst_sel:DWORD dst_unused:UNUSED_PAD src0_sel:WORD_1 src1_sel:DWORD
	v_fma_f16 v26, v29, v5, -v0
	v_mul_f16_sdwa v0, v30, v6 dst_sel:DWORD dst_unused:UNUSED_PAD src0_sel:WORD_1 src1_sel:DWORD
	v_fma_f16 v36, v30, v2, v0
	v_mul_f16_sdwa v0, v30, v2 dst_sel:DWORD dst_unused:UNUSED_PAD src0_sel:WORD_1 src1_sel:DWORD
	s_waitcnt lgkmcnt(1)
	v_lshrrev_b32_e32 v7, 16, v41
	v_fma_f16 v30, v30, v6, -v0
	v_mul_f16_sdwa v0, v31, v41 dst_sel:DWORD dst_unused:UNUSED_PAD src0_sel:WORD_1 src1_sel:DWORD
	v_fma_f16 v32, v31, v7, -v0
	v_mul_f16_sdwa v0, v31, v7 dst_sel:DWORD dst_unused:UNUSED_PAD src0_sel:WORD_1 src1_sel:DWORD
	v_fma_f16 v37, v31, v41, v0
	v_lshrrev_b32_e32 v0, 16, v1
	v_mul_f16_sdwa v2, v64, v0 dst_sel:DWORD dst_unused:UNUSED_PAD src0_sel:WORD_1 src1_sel:DWORD
	v_fma_f16 v16, v64, v1, v2
	v_mul_f16_sdwa v1, v64, v1 dst_sel:DWORD dst_unused:UNUSED_PAD src0_sel:WORD_1 src1_sel:DWORD
	v_lshrrev_b32_e32 v2, 16, v3
	ds_read2_b32 v[4:5], v101 offset0:92 offset1:217
	v_fma_f16 v7, v64, v0, -v1
	v_mul_f16_sdwa v0, v66, v2 dst_sel:DWORD dst_unused:UNUSED_PAD src0_sel:WORD_1 src1_sel:DWORD
	v_fma_f16 v21, v66, v3, v0
	v_mul_f16_sdwa v0, v66, v3 dst_sel:DWORD dst_unused:UNUSED_PAD src0_sel:WORD_1 src1_sel:DWORD
	v_fma_f16 v9, v66, v2, -v0
	ds_read2_b32 v[0:1], v99 offset0:62 offset1:187
	s_waitcnt lgkmcnt(1)
	v_lshrrev_b32_e32 v3, 16, v4
	v_mul_f16_sdwa v2, v65, v4 dst_sel:DWORD dst_unused:UNUSED_PAD src0_sel:WORD_1 src1_sel:DWORD
	v_fma_f16 v19, v65, v3, -v2
	v_mul_f16_sdwa v2, v65, v3 dst_sel:DWORD dst_unused:UNUSED_PAD src0_sel:WORD_1 src1_sel:DWORD
	v_fma_f16 v28, v65, v4, v2
	s_waitcnt lgkmcnt(0)
	v_lshrrev_b32_e32 v2, 16, v0
	v_mul_f16_sdwa v3, v67, v0 dst_sel:DWORD dst_unused:UNUSED_PAD src0_sel:WORD_1 src1_sel:DWORD
	v_fma_f16 v23, v67, v2, -v3
	v_mul_f16_sdwa v2, v67, v2 dst_sel:DWORD dst_unused:UNUSED_PAD src0_sel:WORD_1 src1_sel:DWORD
	v_fma_f16 v35, v67, v0, v2
	v_lshrrev_b32_e32 v0, 16, v5
	v_mul_f16_sdwa v2, v69, v0 dst_sel:DWORD dst_unused:UNUSED_PAD src0_sel:WORD_1 src1_sel:DWORD
	v_fma_f16 v6, v69, v5, v2
	v_mul_f16_sdwa v2, v69, v5 dst_sel:DWORD dst_unused:UNUSED_PAD src0_sel:WORD_1 src1_sel:DWORD
	v_fma_f16 v3, v69, v0, -v2
	v_lshrrev_b32_e32 v0, 16, v1
	ds_read2_b32 v[4:5], v94 offset0:104 offset1:229
	v_mul_f16_sdwa v2, v71, v0 dst_sel:DWORD dst_unused:UNUSED_PAD src0_sel:WORD_1 src1_sel:DWORD
	v_fma_f16 v17, v71, v1, v2
	v_mul_f16_sdwa v1, v71, v1 dst_sel:DWORD dst_unused:UNUSED_PAD src0_sel:WORD_1 src1_sel:DWORD
	v_fma_f16 v8, v71, v0, -v1
	ds_read2_b32 v[0:1], v91 offset0:74 offset1:199
	s_waitcnt lgkmcnt(1)
	v_lshrrev_b32_e32 v2, 16, v4
	v_mul_f16_sdwa v10, v68, v4 dst_sel:DWORD dst_unused:UNUSED_PAD src0_sel:WORD_1 src1_sel:DWORD
	v_fma_f16 v18, v68, v2, -v10
	v_mul_f16_sdwa v2, v68, v2 dst_sel:DWORD dst_unused:UNUSED_PAD src0_sel:WORD_1 src1_sel:DWORD
	v_fma_f16 v27, v68, v4, v2
	s_waitcnt lgkmcnt(0)
	v_lshrrev_b32_e32 v2, 16, v0
	v_mul_f16_sdwa v4, v70, v0 dst_sel:DWORD dst_unused:UNUSED_PAD src0_sel:WORD_1 src1_sel:DWORD
	v_fma_f16 v22, v70, v2, -v4
	v_mul_f16_sdwa v2, v70, v2 dst_sel:DWORD dst_unused:UNUSED_PAD src0_sel:WORD_1 src1_sel:DWORD
	v_fma_f16 v31, v70, v0, v2
	v_lshrrev_b32_e32 v0, 16, v5
	v_mul_f16_sdwa v2, v72, v0 dst_sel:DWORD dst_unused:UNUSED_PAD src0_sel:WORD_1 src1_sel:DWORD
	v_fma_f16 v4, v72, v5, v2
	v_mul_f16_sdwa v2, v72, v5 dst_sel:DWORD dst_unused:UNUSED_PAD src0_sel:WORD_1 src1_sel:DWORD
	v_fma_f16 v2, v72, v0, -v2
	v_lshrrev_b32_e32 v0, 16, v1
	v_mul_f16_sdwa v5, v74, v0 dst_sel:DWORD dst_unused:UNUSED_PAD src0_sel:WORD_1 src1_sel:DWORD
	v_fma_f16 v10, v74, v1, v5
	v_mul_f16_sdwa v1, v74, v1 dst_sel:DWORD dst_unused:UNUSED_PAD src0_sel:WORD_1 src1_sel:DWORD
	v_fma_f16 v5, v74, v0, -v1
	ds_read2_b32 v[0:1], v116 offset0:86 offset1:211
	v_lshrrev_b32_e32 v20, 16, v11
	v_mul_f16_sdwa v24, v75, v20 dst_sel:DWORD dst_unused:UNUSED_PAD src0_sel:WORD_1 src1_sel:DWORD
	v_fma_f16 v24, v75, v11, v24
	v_mul_f16_sdwa v11, v75, v11 dst_sel:DWORD dst_unused:UNUSED_PAD src0_sel:WORD_1 src1_sel:DWORD
	v_fma_f16 v11, v75, v20, -v11
	s_waitcnt lgkmcnt(0)
	v_lshrrev_b32_e32 v29, 16, v0
	v_mul_f16_sdwa v20, v73, v0 dst_sel:DWORD dst_unused:UNUSED_PAD src0_sel:WORD_1 src1_sel:DWORD
	v_fma_f16 v20, v73, v29, -v20
	v_mul_f16_sdwa v29, v73, v29 dst_sel:DWORD dst_unused:UNUSED_PAD src0_sel:WORD_1 src1_sel:DWORD
	v_fma_f16 v29, v73, v0, v29
	v_lshrrev_b32_e32 v0, 16, v38
	v_mul_f16_sdwa v39, v13, v0 dst_sel:DWORD dst_unused:UNUSED_PAD src0_sel:WORD_1 src1_sel:DWORD
	v_fma_f16 v39, v13, v38, v39
	v_mul_f16_sdwa v38, v13, v38 dst_sel:DWORD dst_unused:UNUSED_PAD src0_sel:WORD_1 src1_sel:DWORD
	v_fma_f16 v38, v13, v0, -v38
	v_lshrrev_b32_e32 v0, 16, v1
	v_mul_f16_sdwa v13, v14, v0 dst_sel:DWORD dst_unused:UNUSED_PAD src0_sel:WORD_1 src1_sel:DWORD
	v_fma_f16 v41, v14, v1, v13
	v_mul_f16_sdwa v1, v14, v1 dst_sel:DWORD dst_unused:UNUSED_PAD src0_sel:WORD_1 src1_sel:DWORD
	v_fma_f16 v14, v14, v0, -v1
	ds_read2_b32 v[0:1], v118 offset0:116 offset1:241
	v_lshrrev_b32_e32 v13, 16, v40
	v_mul_f16_sdwa v42, v15, v13 dst_sel:DWORD dst_unused:UNUSED_PAD src0_sel:WORD_1 src1_sel:DWORD
	v_fma_f16 v42, v15, v40, v42
	v_mul_f16_sdwa v40, v15, v40 dst_sel:DWORD dst_unused:UNUSED_PAD src0_sel:WORD_1 src1_sel:DWORD
	v_fma_f16 v15, v15, v13, -v40
	s_waitcnt lgkmcnt(0)
	v_lshrrev_b32_e32 v13, 16, v1
	v_mul_f16_sdwa v40, v12, v1 dst_sel:DWORD dst_unused:UNUSED_PAD src0_sel:WORD_1 src1_sel:DWORD
	v_fma_f16 v40, v12, v13, -v40
	v_mul_f16_sdwa v13, v12, v13 dst_sel:DWORD dst_unused:UNUSED_PAD src0_sel:WORD_1 src1_sel:DWORD
	v_fma_f16 v1, v12, v1, v13
	ds_read2_b32 v[12:13], v81 offset1:125
	v_sub_f16_e32 v43, v1, v39
	v_sub_f16_e32 v44, v42, v41
	v_add_f16_e32 v43, v43, v44
	v_add_f16_e32 v44, v39, v41
	s_waitcnt lgkmcnt(0)
	v_fma_f16 v44, v44, -0.5, v12
	v_sub_f16_e32 v45, v40, v15
	v_fma_f16 v46, v45, s12, v44
	v_sub_f16_e32 v47, v38, v14
	v_fma_f16 v44, v45, s0, v44
	v_fma_f16 v46, v47, s7, v46
	;; [unrolled: 1-line block ×5, first 2 shown]
	v_sub_f16_e32 v44, v39, v1
	v_sub_f16_e32 v48, v41, v42
	v_add_f16_e32 v44, v44, v48
	v_add_f16_e32 v48, v1, v42
	v_fma_f16 v48, v48, -0.5, v12
	v_fma_f16 v49, v47, s0, v48
	v_fma_f16 v47, v47, s12, v48
	v_fma_f16 v48, v45, s7, v49
	v_fma_f16 v45, v45, s1, v47
	v_fma_f16 v47, v44, s6, v48
	v_fma_f16 v44, v44, s6, v45
	v_add_f16_e32 v45, v12, v1
	v_add_f16_e32 v45, v45, v39
	;; [unrolled: 1-line block ×4, first 2 shown]
	v_sub_f16_e32 v1, v1, v42
	v_sub_f16_e32 v39, v39, v41
	;; [unrolled: 1-line block ×4, first 2 shown]
	v_add_f16_e32 v41, v41, v42
	v_lshrrev_b32_e32 v12, 16, v12
	v_add_f16_e32 v42, v38, v14
	v_fma_f16 v42, v42, -0.5, v12
	v_fma_f16 v48, v1, s0, v42
	v_fma_f16 v42, v1, s12, v42
	;; [unrolled: 1-line block ×6, first 2 shown]
	v_add_f16_e32 v42, v40, v15
	v_fma_f16 v42, v42, -0.5, v12
	v_add_f16_e32 v12, v12, v40
	v_add_f16_e32 v12, v12, v38
	v_sub_f16_e32 v38, v38, v40
	v_add_f16_e32 v12, v12, v14
	v_sub_f16_e32 v14, v14, v15
	v_add_f16_e32 v12, v12, v15
	v_add_f16_e32 v14, v38, v14
	v_fma_f16 v15, v39, s12, v42
	v_fma_f16 v38, v39, s0, v42
	;; [unrolled: 1-line block ×6, first 2 shown]
	v_pack_b32_f16 v40, v45, v12
	v_pack_b32_f16 v12, v46, v48
	v_add_f16_e32 v14, v34, v36
	v_add_f16_e32 v38, v33, v37
	v_lshrrev_b32_e32 v39, 16, v13
	ds_write_b32 v81, v12 offset:2500
	v_pack_b32_f16 v12, v47, v15
	v_pack_b32_f16 v1, v44, v1
	v_fma_f16 v14, v14, -0.5, v13
	v_fma_f16 v38, v38, -0.5, v13
	v_add_f16_e32 v13, v13, v33
	ds_write_b32 v81, v12 offset:5000
	ds_write_b32 v81, v1 offset:7500
	v_pack_b32_f16 v1, v43, v41
	v_add_f16_e32 v12, v39, v25
	ds_write_b32 v81, v1 offset:10000
	v_add_f16_e32 v1, v13, v34
	v_add_f16_e32 v12, v12, v26
	;; [unrolled: 1-line block ×6, first 2 shown]
	v_pack_b32_f16 v1, v1, v12
	ds_read2_b32 v[12:13], v104 offset0:122 offset1:247
	ds_write2_b32 v81, v40, v1 offset1:125
	v_sub_f16_e32 v1, v33, v34
	v_sub_f16_e32 v15, v37, v36
	v_add_f16_e32 v1, v1, v15
	v_sub_f16_e32 v15, v25, v32
	v_fma_f16 v40, v15, s12, v14
	v_sub_f16_e32 v41, v26, v30
	v_fma_f16 v14, v15, s0, v14
	v_fma_f16 v40, v41, s7, v40
	;; [unrolled: 1-line block ×5, first 2 shown]
	v_sub_f16_e32 v14, v34, v33
	v_sub_f16_e32 v42, v36, v37
	v_add_f16_e32 v14, v14, v42
	v_fma_f16 v42, v41, s0, v38
	v_fma_f16 v38, v41, s12, v38
	;; [unrolled: 1-line block ×6, first 2 shown]
	v_sub_f16_e32 v15, v33, v37
	v_sub_f16_e32 v33, v34, v36
	v_sub_f16_e32 v34, v25, v26
	v_sub_f16_e32 v36, v32, v30
	v_add_f16_e32 v34, v34, v36
	v_add_f16_e32 v36, v26, v30
	v_fma_f16 v36, v36, -0.5, v39
	v_fma_f16 v37, v15, s0, v36
	v_fma_f16 v36, v15, s12, v36
	v_fma_f16 v37, v33, s1, v37
	v_fma_f16 v36, v33, s7, v36
	v_fma_f16 v37, v34, s6, v37
	v_fma_f16 v34, v34, s6, v36
	v_add_f16_e32 v36, v25, v32
	v_fma_f16 v36, v36, -0.5, v39
	v_sub_f16_e32 v25, v26, v25
	v_sub_f16_e32 v26, v30, v32
	v_add_f16_e32 v25, v25, v26
	v_fma_f16 v26, v33, s12, v36
	v_fma_f16 v30, v33, s0, v36
	;; [unrolled: 1-line block ×6, first 2 shown]
	v_sub_f16_e32 v25, v16, v28
	v_sub_f16_e32 v30, v35, v21
	v_add_f16_e32 v25, v25, v30
	v_add_f16_e32 v30, v28, v21
	s_waitcnt lgkmcnt(1)
	v_fma_f16 v30, v30, -0.5, v12
	v_sub_f16_e32 v32, v7, v23
	v_fma_f16 v33, v32, s12, v30
	v_sub_f16_e32 v36, v19, v9
	v_fma_f16 v30, v32, s0, v30
	v_fma_f16 v33, v36, s7, v33
	;; [unrolled: 1-line block ×5, first 2 shown]
	v_sub_f16_e32 v30, v28, v16
	v_sub_f16_e32 v39, v21, v35
	v_add_f16_e32 v30, v30, v39
	v_add_f16_e32 v39, v16, v35
	v_fma_f16 v39, v39, -0.5, v12
	v_fma_f16 v41, v36, s0, v39
	v_fma_f16 v36, v36, s12, v39
	;; [unrolled: 1-line block ×6, first 2 shown]
	v_add_f16_e32 v32, v12, v16
	v_add_f16_e32 v32, v32, v28
	;; [unrolled: 1-line block ×4, first 2 shown]
	v_sub_f16_e32 v16, v16, v35
	v_sub_f16_e32 v21, v28, v21
	;; [unrolled: 1-line block ×4, first 2 shown]
	v_add_f16_e32 v28, v28, v35
	v_lshrrev_b32_e32 v12, 16, v12
	v_add_f16_e32 v35, v19, v9
	v_fma_f16 v35, v35, -0.5, v12
	v_fma_f16 v39, v16, s0, v35
	v_fma_f16 v35, v16, s12, v35
	;; [unrolled: 1-line block ×6, first 2 shown]
	v_add_f16_e32 v35, v7, v23
	v_fma_f16 v35, v35, -0.5, v12
	v_add_f16_e32 v12, v12, v7
	v_add_f16_e32 v12, v12, v19
	v_sub_f16_e32 v7, v19, v7
	v_add_f16_e32 v12, v12, v9
	v_sub_f16_e32 v9, v9, v23
	v_add_f16_e32 v7, v7, v9
	v_fma_f16 v9, v21, s12, v35
	v_fma_f16 v19, v21, s0, v35
	;; [unrolled: 1-line block ×4, first 2 shown]
	v_add_f16_e32 v12, v12, v23
	v_fma_f16 v9, v7, s6, v9
	v_fma_f16 v7, v7, s6, v16
	v_add_f16_e32 v16, v6, v31
	v_sub_f16_e32 v23, v27, v6
	v_sub_f16_e32 v35, v17, v31
	v_fma_f16 v16, v16, -0.5, v13
	v_add_f16_e32 v23, v23, v35
	v_sub_f16_e32 v35, v18, v8
	v_fma_f16 v41, v35, s12, v16
	v_sub_f16_e32 v42, v3, v22
	v_fma_f16 v16, v35, s0, v16
	v_add_f16_e32 v19, v27, v17
	v_fma_f16 v41, v42, s7, v41
	v_fma_f16 v16, v42, s1, v16
	v_fma_f16 v19, v19, -0.5, v13
	v_lshrrev_b32_e32 v21, 16, v13
	v_add_f16_e32 v13, v13, v27
	v_fma_f16 v41, v23, s6, v41
	v_fma_f16 v16, v23, s6, v16
	v_sub_f16_e32 v23, v6, v27
	v_sub_f16_e32 v43, v31, v17
	v_add_f16_e32 v23, v23, v43
	v_fma_f16 v43, v42, s0, v19
	v_fma_f16 v19, v42, s12, v19
	v_add_f16_e32 v13, v13, v6
	v_fma_f16 v42, v35, s7, v43
	v_fma_f16 v19, v35, s1, v19
	;; [unrolled: 3-line block ×3, first 2 shown]
	v_add_f16_e32 v13, v13, v17
	v_sub_f16_e32 v17, v27, v17
	v_sub_f16_e32 v23, v18, v3
	;; [unrolled: 1-line block ×3, first 2 shown]
	v_add_f16_e32 v23, v23, v27
	v_add_f16_e32 v27, v3, v22
	v_fma_f16 v27, v27, -0.5, v21
	v_sub_f16_e32 v6, v6, v31
	v_fma_f16 v31, v17, s0, v27
	v_fma_f16 v27, v17, s12, v27
	;; [unrolled: 1-line block ×6, first 2 shown]
	v_add_f16_e32 v27, v18, v8
	v_fma_f16 v27, v27, -0.5, v21
	v_add_f16_e32 v21, v21, v18
	v_add_f16_e32 v21, v21, v3
	v_sub_f16_e32 v3, v3, v18
	v_add_f16_e32 v18, v21, v22
	v_add_f16_e32 v18, v18, v8
	v_sub_f16_e32 v8, v22, v8
	v_add_f16_e32 v3, v3, v8
	v_fma_f16 v8, v6, s12, v27
	v_fma_f16 v6, v6, s0, v27
	;; [unrolled: 1-line block ×6, first 2 shown]
	v_add_f16_e32 v6, v29, v10
	v_sub_f16_e32 v22, v4, v29
	v_sub_f16_e32 v27, v24, v10
	v_fma_f16 v6, v6, -0.5, v0
	v_add_f16_e32 v22, v22, v27
	v_sub_f16_e32 v27, v2, v11
	v_fma_f16 v42, v27, s12, v6
	v_sub_f16_e32 v43, v20, v5
	v_fma_f16 v6, v27, s0, v6
	v_add_f16_e32 v17, v4, v24
	v_fma_f16 v42, v43, s7, v42
	v_fma_f16 v6, v43, s1, v6
	v_fma_f16 v17, v17, -0.5, v0
	v_lshrrev_b32_e32 v21, 16, v0
	v_add_f16_e32 v0, v0, v4
	v_fma_f16 v42, v22, s6, v42
	v_fma_f16 v6, v22, s6, v6
	v_sub_f16_e32 v22, v29, v4
	v_sub_f16_e32 v44, v10, v24
	v_add_f16_e32 v22, v22, v44
	v_fma_f16 v44, v43, s0, v17
	v_fma_f16 v17, v43, s12, v17
	v_add_f16_e32 v0, v0, v29
	v_fma_f16 v43, v27, s7, v44
	v_fma_f16 v17, v27, s1, v17
	v_add_f16_e32 v0, v0, v10
	v_fma_f16 v27, v22, s6, v43
	v_fma_f16 v17, v22, s6, v17
	v_add_f16_e32 v0, v0, v24
	v_sub_f16_e32 v4, v4, v24
	v_sub_f16_e32 v22, v2, v20
	;; [unrolled: 1-line block ×3, first 2 shown]
	v_add_f16_e32 v22, v22, v24
	v_add_f16_e32 v24, v20, v5
	v_fma_f16 v24, v24, -0.5, v21
	v_sub_f16_e32 v10, v29, v10
	v_fma_f16 v29, v4, s0, v24
	v_fma_f16 v24, v4, s12, v24
	;; [unrolled: 1-line block ×6, first 2 shown]
	v_add_f16_e32 v24, v2, v11
	v_fma_f16 v24, v24, -0.5, v21
	v_add_f16_e32 v21, v21, v2
	v_add_f16_e32 v21, v21, v20
	v_sub_f16_e32 v2, v20, v2
	v_add_f16_e32 v20, v21, v5
	v_sub_f16_e32 v5, v5, v11
	v_add_f16_e32 v2, v2, v5
	v_fma_f16 v5, v10, s12, v24
	v_fma_f16 v10, v10, s0, v24
	;; [unrolled: 1-line block ×4, first 2 shown]
	v_add_f16_e32 v20, v20, v11
	v_fma_f16 v5, v2, s6, v5
	v_fma_f16 v2, v2, s6, v4
	v_pack_b32_f16 v4, v40, v37
	v_pack_b32_f16 v11, v14, v15
	v_pack_b32_f16 v14, v33, v39
	v_pack_b32_f16 v10, v38, v26
	ds_write2_b32 v109, v4, v14 offset0:110 offset1:235
	v_pack_b32_f16 v4, v36, v9
	ds_write2_b32 v119, v10, v4 offset0:95 offset1:220
	v_pack_b32_f16 v4, v30, v7
	v_pack_b32_f16 v1, v1, v34
	ds_write2_b32 v107, v11, v4 offset0:80 offset1:205
	v_pack_b32_f16 v4, v25, v28
	;; [unrolled: 3-line block ×4, first 2 shown]
	ds_write_b32 v81, v0 offset:2000
	v_pack_b32_f16 v0, v42, v29
	v_pack_b32_f16 v4, v35, v8
	ds_write2_b32 v94, v1, v0 offset0:104 offset1:229
	v_pack_b32_f16 v0, v27, v5
	v_pack_b32_f16 v3, v19, v3
	ds_write2_b32 v121, v4, v0 offset0:89 offset1:214
	;; [unrolled: 3-line block ×3, first 2 shown]
	v_pack_b32_f16 v0, v6, v22
	ds_write2_b32 v122, v7, v0 offset0:59 offset1:184
	s_waitcnt lgkmcnt(0)
	s_barrier
	ds_read2_b32 v[2:3], v81 offset1:125
	v_mad_u64_u32 v[4:5], s[0:1], s10, v76, 0
	s_movk_i32 s6, 0x1ff
	s_movk_i32 s7, 0xffe
	s_waitcnt lgkmcnt(0)
	v_lshrrev_b32_e32 v7, 16, v2
	v_mul_f16_sdwa v0, v113, v7 dst_sel:DWORD dst_unused:UNUSED_PAD src0_sel:WORD_1 src1_sel:DWORD
	v_fma_f16 v0, v113, v2, v0
	v_cvt_f32_f16_e32 v0, v0
	v_mad_u64_u32 v[5:6], s[0:1], s11, v76, v[5:6]
	v_mul_f16_sdwa v2, v113, v2 dst_sel:DWORD dst_unused:UNUSED_PAD src0_sel:WORD_1 src1_sel:DWORD
	v_cvt_f64_f32_e32 v[0:1], v0
	v_fma_f16 v2, v113, v7, -v2
	v_cvt_f32_f16_e32 v2, v2
	s_movk_i32 s10, 0x40f
	v_mul_f64 v[0:1], v[0:1], s[2:3]
	s_mov_b32 s11, 0x8000
	v_lshlrev_b64 v[4:5], 2, v[4:5]
	v_and_or_b32 v0, v1, s6, v0
	v_cmp_ne_u32_e32 vcc, 0, v0
	v_cndmask_b32_e64 v0, 0, 1, vcc
	v_lshrrev_b32_e32 v6, 8, v1
	v_bfe_u32 v8, v1, 20, 11
	v_and_or_b32 v0, v6, s7, v0
	v_sub_u32_e32 v9, 0x3f1, v8
	v_or_b32_e32 v6, 0x1000, v0
	v_med3_i32 v9, v9, 0, 13
	v_lshrrev_b32_e32 v10, v9, v6
	v_lshlrev_b32_e32 v9, v9, v10
	v_cmp_ne_u32_e32 vcc, v9, v6
	v_cndmask_b32_e64 v6, 0, 1, vcc
	v_add_u32_e32 v9, 0xfffffc10, v8
	v_or_b32_e32 v6, v10, v6
	v_lshl_or_b32 v8, v9, 12, v0
	v_cmp_gt_i32_e32 vcc, 1, v9
	v_cndmask_b32_e32 v6, v8, v6, vcc
	v_and_b32_e32 v8, 7, v6
	v_cmp_lt_i32_e32 vcc, 5, v8
	v_cmp_eq_u32_e64 s[0:1], 3, v8
	v_lshrrev_b32_e32 v6, 2, v6
	s_or_b64 vcc, s[0:1], vcc
	v_addc_co_u32_e32 v10, vcc, 0, v6, vcc
	v_cvt_f64_f32_e32 v[6:7], v2
	v_mov_b32_e32 v8, 0x7c00
	v_cmp_gt_i32_e32 vcc, 31, v9
	v_cndmask_b32_e32 v2, v8, v10, vcc
	v_mul_f64 v[6:7], v[6:7], s[2:3]
	v_cmp_ne_u32_e32 vcc, 0, v0
	v_cndmask_b32_e64 v0, 0, 1, vcc
	v_lshl_or_b32 v0, v0, 9, v8
	v_cmp_eq_u32_e32 vcc, s10, v9
	v_cndmask_b32_e32 v0, v2, v0, vcc
	v_lshrrev_b32_e32 v1, 16, v1
	v_and_or_b32 v11, v1, s11, v0
	v_and_or_b32 v0, v7, s6, v6
	v_cmp_ne_u32_e32 vcc, 0, v0
	v_cndmask_b32_e64 v0, 0, 1, vcc
	v_lshrrev_b32_e32 v1, 8, v7
	v_bfe_u32 v2, v7, 20, 11
	v_and_or_b32 v0, v1, s7, v0
	v_sub_u32_e32 v6, 0x3f1, v2
	v_or_b32_e32 v1, 0x1000, v0
	v_med3_i32 v6, v6, 0, 13
	v_lshrrev_b32_e32 v9, v6, v1
	v_lshlrev_b32_e32 v6, v6, v9
	v_cmp_ne_u32_e32 vcc, v6, v1
	v_cndmask_b32_e64 v1, 0, 1, vcc
	v_add_u32_e32 v2, 0xfffffc10, v2
	v_or_b32_e32 v1, v9, v1
	v_lshl_or_b32 v6, v2, 12, v0
	v_cmp_gt_i32_e32 vcc, 1, v2
	v_cndmask_b32_e32 v1, v6, v1, vcc
	v_and_b32_e32 v6, 7, v1
	v_cmp_lt_i32_e32 vcc, 5, v6
	v_cmp_eq_u32_e64 s[0:1], 3, v6
	v_lshrrev_b32_e32 v1, 2, v1
	s_or_b64 vcc, s[0:1], vcc
	v_addc_co_u32_e32 v1, vcc, 0, v1, vcc
	v_cmp_gt_i32_e32 vcc, 31, v2
	v_cndmask_b32_e32 v1, v8, v1, vcc
	v_cmp_ne_u32_e32 vcc, 0, v0
	v_cndmask_b32_e64 v0, 0, 1, vcc
	v_lshl_or_b32 v0, v0, 9, v8
	v_cmp_eq_u32_e32 vcc, s10, v2
	v_mad_u64_u32 v[9:10], s[0:1], s8, v111, 0
	v_cndmask_b32_e32 v12, v1, v0, vcc
	ds_read2_b32 v[0:1], v118 offset0:116 offset1:241
	v_mov_b32_e32 v2, v10
	v_lshrrev_b32_e32 v13, 16, v7
	v_mad_u64_u32 v[6:7], s[0:1], s9, v111, v[2:3]
	s_waitcnt lgkmcnt(0)
	v_lshrrev_b32_e32 v2, 16, v1
	v_mul_f16_sdwa v7, v110, v2 dst_sel:DWORD dst_unused:UNUSED_PAD src0_sel:WORD_1 src1_sel:DWORD
	v_fma_f16 v7, v110, v1, v7
	v_cvt_f32_f16_e32 v7, v7
	v_mov_b32_e32 v10, v6
	v_and_or_b32 v12, v13, s11, v12
	v_and_b32_e32 v11, 0xffff, v11
	v_cvt_f64_f32_e32 v[6:7], v7
	v_lshl_or_b32 v11, v12, 16, v11
	v_mov_b32_e32 v12, s5
	v_add_co_u32_e32 v13, vcc, s4, v4
	v_mul_f64 v[6:7], v[6:7], s[2:3]
	v_addc_co_u32_e32 v12, vcc, v12, v5, vcc
	v_lshlrev_b64 v[4:5], 2, v[9:10]
	v_mul_f16_sdwa v1, v110, v1 dst_sel:DWORD dst_unused:UNUSED_PAD src0_sel:WORD_1 src1_sel:DWORD
	v_add_co_u32_e32 v9, vcc, v13, v4
	v_addc_co_u32_e32 v10, vcc, v12, v5, vcc
	v_and_or_b32 v4, v7, s6, v6
	v_cmp_ne_u32_e32 vcc, 0, v4
	v_fma_f16 v1, v110, v2, -v1
	v_cndmask_b32_e64 v4, 0, 1, vcc
	v_lshrrev_b32_e32 v5, 8, v7
	v_bfe_u32 v6, v7, 20, 11
	v_cvt_f32_f16_e32 v1, v1
	global_store_dword v[9:10], v11, off
	v_and_or_b32 v4, v5, s7, v4
	v_sub_u32_e32 v11, 0x3f1, v6
	v_or_b32_e32 v5, 0x1000, v4
	v_med3_i32 v11, v11, 0, 13
	v_lshrrev_b32_e32 v12, v11, v5
	v_lshlrev_b32_e32 v11, v11, v12
	v_cvt_f64_f32_e32 v[1:2], v1
	v_cmp_ne_u32_e32 vcc, v11, v5
	v_cndmask_b32_e64 v5, 0, 1, vcc
	v_add_u32_e32 v6, 0xfffffc10, v6
	v_or_b32_e32 v5, v12, v5
	v_lshl_or_b32 v11, v6, 12, v4
	v_cmp_gt_i32_e32 vcc, 1, v6
	v_cndmask_b32_e32 v5, v11, v5, vcc
	v_mul_f64 v[1:2], v[1:2], s[2:3]
	v_and_b32_e32 v11, 7, v5
	v_cmp_lt_i32_e32 vcc, 5, v11
	v_cmp_eq_u32_e64 s[0:1], 3, v11
	v_lshrrev_b32_e32 v5, 2, v5
	s_or_b64 vcc, s[0:1], vcc
	v_addc_co_u32_e32 v5, vcc, 0, v5, vcc
	v_cmp_gt_i32_e32 vcc, 31, v6
	v_cndmask_b32_e32 v5, v8, v5, vcc
	v_cmp_ne_u32_e32 vcc, 0, v4
	v_cndmask_b32_e64 v4, 0, 1, vcc
	v_lshl_or_b32 v4, v4, 9, v8
	v_cmp_eq_u32_e32 vcc, s10, v6
	v_and_or_b32 v1, v2, s6, v1
	v_cndmask_b32_e32 v4, v5, v4, vcc
	v_lshrrev_b32_e32 v5, 16, v7
	v_cmp_ne_u32_e32 vcc, 0, v1
	v_and_or_b32 v6, v5, s11, v4
	v_cndmask_b32_e64 v1, 0, 1, vcc
	v_lshrrev_b32_e32 v4, 8, v2
	v_bfe_u32 v5, v2, 20, 11
	v_and_or_b32 v1, v4, s7, v1
	v_sub_u32_e32 v7, 0x3f1, v5
	v_or_b32_e32 v4, 0x1000, v1
	v_med3_i32 v7, v7, 0, 13
	v_lshrrev_b32_e32 v11, v7, v4
	v_lshlrev_b32_e32 v7, v7, v11
	v_cmp_ne_u32_e32 vcc, v7, v4
	v_cndmask_b32_e64 v4, 0, 1, vcc
	v_add_u32_e32 v7, 0xfffffc10, v5
	v_or_b32_e32 v4, v11, v4
	v_lshl_or_b32 v5, v7, 12, v1
	v_cmp_gt_i32_e32 vcc, 1, v7
	v_cndmask_b32_e32 v4, v5, v4, vcc
	v_and_b32_e32 v5, 7, v4
	v_cmp_lt_i32_e32 vcc, 5, v5
	v_cmp_eq_u32_e64 s[0:1], 3, v5
	v_lshrrev_b32_e32 v4, 2, v4
	s_or_b64 vcc, s[0:1], vcc
	v_addc_co_u32_e32 v4, vcc, 0, v4, vcc
	v_cmp_gt_i32_e32 vcc, 31, v7
	v_cndmask_b32_e32 v11, v8, v4, vcc
	ds_read2_b32 v[4:5], v117 offset0:98 offset1:223
	v_cmp_ne_u32_e32 vcc, 0, v1
	v_cndmask_b32_e64 v1, 0, 1, vcc
	v_lshl_or_b32 v1, v1, 9, v8
	v_cmp_eq_u32_e32 vcc, s10, v7
	v_cndmask_b32_e32 v1, v11, v1, vcc
	s_waitcnt lgkmcnt(0)
	v_lshrrev_b32_e32 v11, 16, v4
	v_mul_f16_sdwa v7, v114, v11 dst_sel:DWORD dst_unused:UNUSED_PAD src0_sel:WORD_1 src1_sel:DWORD
	v_fma_f16 v7, v114, v4, v7
	v_cvt_f32_f16_e32 v7, v7
	v_lshrrev_b32_e32 v2, 16, v2
	v_and_or_b32 v1, v2, s11, v1
	v_and_b32_e32 v2, 0xffff, v6
	v_lshl_or_b32 v12, v1, 16, v2
	v_cvt_f64_f32_e32 v[1:2], v7
	s_mul_i32 s0, s9, 0x9c4
	s_mul_hi_u32 s4, s8, 0x9c4
	s_add_i32 s4, s4, s0
	v_mul_f64 v[1:2], v[1:2], s[2:3]
	s_mul_i32 s5, s8, 0x9c4
	v_mov_b32_e32 v7, s4
	v_add_co_u32_e32 v6, vcc, s5, v9
	v_addc_co_u32_e32 v7, vcc, v10, v7, vcc
	global_store_dword v[6:7], v12, off
	v_and_or_b32 v1, v2, s6, v1
	v_cmp_ne_u32_e32 vcc, 0, v1
	v_cndmask_b32_e64 v1, 0, 1, vcc
	v_lshrrev_b32_e32 v9, 8, v2
	v_bfe_u32 v10, v2, 20, 11
	v_and_or_b32 v1, v9, s7, v1
	v_sub_u32_e32 v12, 0x3f1, v10
	v_or_b32_e32 v9, 0x1000, v1
	v_med3_i32 v12, v12, 0, 13
	v_lshrrev_b32_e32 v13, v12, v9
	v_lshlrev_b32_e32 v12, v12, v13
	v_mul_f16_sdwa v4, v114, v4 dst_sel:DWORD dst_unused:UNUSED_PAD src0_sel:WORD_1 src1_sel:DWORD
	v_cmp_ne_u32_e32 vcc, v12, v9
	v_fma_f16 v4, v114, v11, -v4
	v_cndmask_b32_e64 v9, 0, 1, vcc
	v_add_u32_e32 v12, 0xfffffc10, v10
	v_cvt_f32_f16_e32 v4, v4
	v_or_b32_e32 v9, v13, v9
	v_lshl_or_b32 v10, v12, 12, v1
	v_cmp_gt_i32_e32 vcc, 1, v12
	v_cndmask_b32_e32 v9, v10, v9, vcc
	v_and_b32_e32 v10, 7, v9
	v_cmp_lt_i32_e32 vcc, 5, v10
	v_cmp_eq_u32_e64 s[0:1], 3, v10
	v_lshrrev_b32_e32 v11, 2, v9
	v_cvt_f64_f32_e32 v[9:10], v4
	s_or_b64 vcc, s[0:1], vcc
	v_addc_co_u32_e32 v4, vcc, 0, v11, vcc
	v_mul_f64 v[9:10], v[9:10], s[2:3]
	v_cmp_gt_i32_e32 vcc, 31, v12
	v_cndmask_b32_e32 v4, v8, v4, vcc
	v_cmp_ne_u32_e32 vcc, 0, v1
	v_cndmask_b32_e64 v1, 0, 1, vcc
	v_lshl_or_b32 v1, v1, 9, v8
	v_cmp_eq_u32_e32 vcc, s10, v12
	v_cndmask_b32_e32 v1, v4, v1, vcc
	v_lshrrev_b32_e32 v2, 16, v2
	v_and_or_b32 v4, v2, s11, v1
	v_and_or_b32 v1, v10, s6, v9
	v_cmp_ne_u32_e32 vcc, 0, v1
	v_cndmask_b32_e64 v1, 0, 1, vcc
	v_lshrrev_b32_e32 v2, 8, v10
	v_and_or_b32 v9, v2, s7, v1
	v_bfe_u32 v2, v10, 20, 11
	v_sub_u32_e32 v11, 0x3f1, v2
	v_or_b32_e32 v1, 0x1000, v9
	v_med3_i32 v11, v11, 0, 13
	v_lshrrev_b32_e32 v12, v11, v1
	v_lshlrev_b32_e32 v11, v11, v12
	v_cmp_ne_u32_e32 vcc, v11, v1
	v_cndmask_b32_e64 v1, 0, 1, vcc
	v_add_u32_e32 v11, 0xfffffc10, v2
	v_or_b32_e32 v1, v12, v1
	v_lshl_or_b32 v2, v11, 12, v9
	v_cmp_gt_i32_e32 vcc, 1, v11
	v_cndmask_b32_e32 v1, v2, v1, vcc
	v_and_b32_e32 v2, 7, v1
	v_cmp_lt_i32_e32 vcc, 5, v2
	v_cmp_eq_u32_e64 s[0:1], 3, v2
	v_lshrrev_b32_e32 v1, 2, v1
	s_or_b64 vcc, s[0:1], vcc
	v_addc_co_u32_e32 v12, vcc, 0, v1, vcc
	ds_read2_b32 v[1:2], v116 offset0:86 offset1:211
	v_cmp_gt_i32_e32 vcc, 31, v11
	v_cndmask_b32_e32 v12, v8, v12, vcc
	v_cmp_ne_u32_e32 vcc, 0, v9
	v_cndmask_b32_e64 v9, 0, 1, vcc
	s_waitcnt lgkmcnt(0)
	v_lshrrev_b32_e32 v13, 16, v2
	v_mul_f16_sdwa v14, v112, v13 dst_sel:DWORD dst_unused:UNUSED_PAD src0_sel:WORD_1 src1_sel:DWORD
	v_fma_f16 v14, v112, v2, v14
	v_cvt_f32_f16_e32 v14, v14
	v_lshl_or_b32 v9, v9, 9, v8
	v_cmp_eq_u32_e32 vcc, s10, v11
	v_cndmask_b32_e32 v9, v12, v9, vcc
	v_cvt_f64_f32_e32 v[11:12], v14
	v_lshrrev_b32_e32 v10, 16, v10
	v_and_or_b32 v14, v10, s11, v9
	v_and_b32_e32 v4, 0xffff, v4
	v_mul_f64 v[9:10], v[11:12], s[2:3]
	v_mov_b32_e32 v12, s4
	v_add_co_u32_e32 v11, vcc, s5, v6
	v_lshl_or_b32 v4, v14, 16, v4
	v_addc_co_u32_e32 v12, vcc, v7, v12, vcc
	global_store_dword v[11:12], v4, off
	v_and_or_b32 v4, v10, s6, v9
	v_cmp_ne_u32_e32 vcc, 0, v4
	v_cndmask_b32_e64 v4, 0, 1, vcc
	v_lshrrev_b32_e32 v6, 8, v10
	v_bfe_u32 v7, v10, 20, 11
	v_and_or_b32 v4, v6, s7, v4
	v_sub_u32_e32 v9, 0x3f1, v7
	v_or_b32_e32 v6, 0x1000, v4
	v_med3_i32 v9, v9, 0, 13
	v_lshrrev_b32_e32 v14, v9, v6
	v_lshlrev_b32_e32 v9, v9, v14
	v_mul_f16_sdwa v2, v112, v2 dst_sel:DWORD dst_unused:UNUSED_PAD src0_sel:WORD_1 src1_sel:DWORD
	v_cmp_ne_u32_e32 vcc, v9, v6
	v_fma_f16 v2, v112, v13, -v2
	v_cndmask_b32_e64 v6, 0, 1, vcc
	v_add_u32_e32 v9, 0xfffffc10, v7
	v_cvt_f32_f16_e32 v2, v2
	v_or_b32_e32 v6, v14, v6
	v_lshl_or_b32 v7, v9, 12, v4
	v_cmp_gt_i32_e32 vcc, 1, v9
	v_cndmask_b32_e32 v6, v7, v6, vcc
	v_and_b32_e32 v7, 7, v6
	v_cmp_lt_i32_e32 vcc, 5, v7
	v_cmp_eq_u32_e64 s[0:1], 3, v7
	v_lshrrev_b32_e32 v13, 2, v6
	v_cvt_f64_f32_e32 v[6:7], v2
	s_or_b64 vcc, s[0:1], vcc
	v_addc_co_u32_e32 v2, vcc, 0, v13, vcc
	v_mul_f64 v[13:14], v[6:7], s[2:3]
	v_cmp_gt_i32_e32 vcc, 31, v9
	v_cndmask_b32_e32 v2, v8, v2, vcc
	v_cmp_ne_u32_e32 vcc, 0, v4
	v_cndmask_b32_e64 v4, 0, 1, vcc
	v_lshl_or_b32 v4, v4, 9, v8
	v_cmp_eq_u32_e32 vcc, s10, v9
	v_cndmask_b32_e32 v2, v2, v4, vcc
	v_lshrrev_b32_e32 v4, 16, v10
	v_and_or_b32 v2, v4, s11, v2
	v_and_or_b32 v4, v14, s6, v13
	v_cmp_ne_u32_e32 vcc, 0, v4
	v_cndmask_b32_e64 v4, 0, 1, vcc
	v_lshrrev_b32_e32 v6, 8, v14
	v_bfe_u32 v7, v14, 20, 11
	v_and_or_b32 v4, v6, s7, v4
	v_sub_u32_e32 v9, 0x3f1, v7
	v_or_b32_e32 v6, 0x1000, v4
	v_med3_i32 v9, v9, 0, 13
	v_lshrrev_b32_e32 v10, v9, v6
	v_lshlrev_b32_e32 v9, v9, v10
	v_cmp_ne_u32_e32 vcc, v9, v6
	v_cndmask_b32_e64 v6, 0, 1, vcc
	v_add_u32_e32 v9, 0xfffffc10, v7
	v_or_b32_e32 v6, v10, v6
	v_lshl_or_b32 v7, v9, 12, v4
	v_cmp_gt_i32_e32 vcc, 1, v9
	v_cndmask_b32_e32 v6, v7, v6, vcc
	v_and_b32_e32 v7, 7, v6
	v_cmp_lt_i32_e32 vcc, 5, v7
	v_cmp_eq_u32_e64 s[0:1], 3, v7
	v_lshrrev_b32_e32 v6, 2, v6
	s_or_b64 vcc, s[0:1], vcc
	v_addc_co_u32_e32 v10, vcc, 0, v6, vcc
	ds_read2_b32 v[6:7], v115 offset0:68 offset1:193
	v_cmp_gt_i32_e32 vcc, 31, v9
	v_cndmask_b32_e32 v10, v8, v10, vcc
	v_cmp_ne_u32_e32 vcc, 0, v4
	v_cndmask_b32_e64 v4, 0, 1, vcc
	s_waitcnt lgkmcnt(0)
	v_lshrrev_b32_e32 v13, 16, v6
	v_mul_f16_sdwa v15, v108, v13 dst_sel:DWORD dst_unused:UNUSED_PAD src0_sel:WORD_1 src1_sel:DWORD
	v_fma_f16 v15, v108, v6, v15
	v_cvt_f32_f16_e32 v15, v15
	v_lshl_or_b32 v4, v4, 9, v8
	v_cmp_eq_u32_e32 vcc, s10, v9
	v_cndmask_b32_e32 v4, v10, v4, vcc
	v_cvt_f64_f32_e32 v[9:10], v15
	v_lshrrev_b32_e32 v14, 16, v14
	v_and_or_b32 v4, v14, s11, v4
	v_and_b32_e32 v2, 0xffff, v2
	v_mul_f64 v[9:10], v[9:10], s[2:3]
	v_lshl_or_b32 v2, v4, 16, v2
	v_mov_b32_e32 v4, s4
	v_add_co_u32_e32 v11, vcc, s5, v11
	v_addc_co_u32_e32 v12, vcc, v12, v4, vcc
	global_store_dword v[11:12], v2, off
	v_and_or_b32 v2, v10, s6, v9
	v_cmp_ne_u32_e32 vcc, 0, v2
	v_cndmask_b32_e64 v2, 0, 1, vcc
	v_lshrrev_b32_e32 v4, 8, v10
	v_bfe_u32 v9, v10, 20, 11
	v_and_or_b32 v2, v4, s7, v2
	v_sub_u32_e32 v14, 0x3f1, v9
	v_or_b32_e32 v4, 0x1000, v2
	v_med3_i32 v14, v14, 0, 13
	v_lshrrev_b32_e32 v15, v14, v4
	v_lshlrev_b32_e32 v14, v14, v15
	v_mul_f16_sdwa v6, v108, v6 dst_sel:DWORD dst_unused:UNUSED_PAD src0_sel:WORD_1 src1_sel:DWORD
	v_cmp_ne_u32_e32 vcc, v14, v4
	v_fma_f16 v6, v108, v13, -v6
	v_cndmask_b32_e64 v4, 0, 1, vcc
	v_add_u32_e32 v9, 0xfffffc10, v9
	v_cvt_f32_f16_e32 v6, v6
	v_or_b32_e32 v4, v15, v4
	v_lshl_or_b32 v14, v9, 12, v2
	v_cmp_gt_i32_e32 vcc, 1, v9
	v_cndmask_b32_e32 v4, v14, v4, vcc
	v_and_b32_e32 v14, 7, v4
	v_cmp_lt_i32_e32 vcc, 5, v14
	v_cmp_eq_u32_e64 s[0:1], 3, v14
	v_cvt_f64_f32_e32 v[13:14], v6
	v_lshrrev_b32_e32 v4, 2, v4
	s_or_b64 vcc, s[0:1], vcc
	v_addc_co_u32_e32 v4, vcc, 0, v4, vcc
	v_mul_f64 v[13:14], v[13:14], s[2:3]
	v_cmp_gt_i32_e32 vcc, 31, v9
	v_cndmask_b32_e32 v4, v8, v4, vcc
	v_cmp_ne_u32_e32 vcc, 0, v2
	v_cndmask_b32_e64 v2, 0, 1, vcc
	v_lshl_or_b32 v2, v2, 9, v8
	v_cmp_eq_u32_e32 vcc, s10, v9
	v_cndmask_b32_e32 v2, v4, v2, vcc
	v_lshrrev_b32_e32 v4, 16, v10
	v_and_or_b32 v2, v4, s11, v2
	v_and_or_b32 v4, v14, s6, v13
	v_cmp_ne_u32_e32 vcc, 0, v4
	v_cndmask_b32_e64 v4, 0, 1, vcc
	v_lshrrev_b32_e32 v6, 8, v14
	v_bfe_u32 v9, v14, 20, 11
	v_and_or_b32 v4, v6, s7, v4
	v_sub_u32_e32 v10, 0x3f1, v9
	v_or_b32_e32 v6, 0x1000, v4
	v_med3_i32 v10, v10, 0, 13
	v_lshrrev_b32_e32 v13, v10, v6
	v_lshlrev_b32_e32 v10, v10, v13
	v_cmp_ne_u32_e32 vcc, v10, v6
	v_cndmask_b32_e64 v6, 0, 1, vcc
	v_add_u32_e32 v9, 0xfffffc10, v9
	v_or_b32_e32 v6, v13, v6
	v_lshl_or_b32 v10, v9, 12, v4
	v_cmp_gt_i32_e32 vcc, 1, v9
	v_cndmask_b32_e32 v6, v10, v6, vcc
	v_and_b32_e32 v10, 7, v6
	v_lshrrev_b32_e32 v13, 16, v3
	v_cmp_lt_i32_e32 vcc, 5, v10
	v_cmp_eq_u32_e64 s[0:1], 3, v10
	v_mul_f16_sdwa v10, v106, v13 dst_sel:DWORD dst_unused:UNUSED_PAD src0_sel:WORD_1 src1_sel:DWORD
	v_fma_f16 v10, v106, v3, v10
	v_lshrrev_b32_e32 v6, 2, v6
	s_or_b64 vcc, s[0:1], vcc
	v_cvt_f32_f16_e32 v10, v10
	v_addc_co_u32_e32 v6, vcc, 0, v6, vcc
	v_cmp_gt_i32_e32 vcc, 31, v9
	v_cndmask_b32_e32 v6, v8, v6, vcc
	v_cmp_ne_u32_e32 vcc, 0, v4
	v_cndmask_b32_e64 v4, 0, 1, vcc
	v_cmp_eq_u32_e32 vcc, s10, v9
	v_cvt_f64_f32_e32 v[9:10], v10
	v_lshl_or_b32 v4, v4, 9, v8
	v_cndmask_b32_e32 v4, v6, v4, vcc
	v_lshrrev_b32_e32 v6, 16, v14
	v_mul_f64 v[9:10], v[9:10], s[2:3]
	v_and_or_b32 v4, v6, s11, v4
	v_and_b32_e32 v2, 0xffff, v2
	v_lshl_or_b32 v2, v4, 16, v2
	v_mov_b32_e32 v4, s4
	v_add_co_u32_e32 v11, vcc, s5, v11
	v_addc_co_u32_e32 v12, vcc, v12, v4, vcc
	global_store_dword v[11:12], v2, off
	v_and_or_b32 v2, v10, s6, v9
	v_cmp_ne_u32_e32 vcc, 0, v2
	v_cndmask_b32_e64 v2, 0, 1, vcc
	v_lshrrev_b32_e32 v4, 8, v10
	v_bfe_u32 v6, v10, 20, 11
	v_and_or_b32 v4, v4, s7, v2
	v_sub_u32_e32 v9, 0x3f1, v6
	v_or_b32_e32 v2, 0x1000, v4
	v_med3_i32 v9, v9, 0, 13
	v_lshrrev_b32_e32 v14, v9, v2
	v_lshlrev_b32_e32 v9, v9, v14
	v_mul_f16_sdwa v3, v106, v3 dst_sel:DWORD dst_unused:UNUSED_PAD src0_sel:WORD_1 src1_sel:DWORD
	v_cmp_ne_u32_e32 vcc, v9, v2
	v_fma_f16 v3, v106, v13, -v3
	v_cndmask_b32_e64 v2, 0, 1, vcc
	v_add_u32_e32 v6, 0xfffffc10, v6
	v_cvt_f32_f16_e32 v3, v3
	v_or_b32_e32 v2, v14, v2
	v_lshl_or_b32 v9, v6, 12, v4
	v_cmp_gt_i32_e32 vcc, 1, v6
	v_cndmask_b32_e32 v2, v9, v2, vcc
	v_and_b32_e32 v9, 7, v2
	v_cmp_lt_i32_e32 vcc, 5, v9
	v_cmp_eq_u32_e64 s[0:1], 3, v9
	v_lshrrev_b32_e32 v9, 2, v2
	v_cvt_f64_f32_e32 v[2:3], v3
	s_or_b64 vcc, s[0:1], vcc
	v_addc_co_u32_e32 v9, vcc, 0, v9, vcc
	v_mul_f64 v[13:14], v[2:3], s[2:3]
	v_cmp_gt_i32_e32 vcc, 31, v6
	v_cndmask_b32_e32 v9, v8, v9, vcc
	v_cmp_ne_u32_e32 vcc, 0, v4
	v_cndmask_b32_e64 v2, 0, 1, vcc
	v_lshl_or_b32 v2, v2, 9, v8
	v_cmp_eq_u32_e32 vcc, s10, v6
	v_cndmask_b32_e32 v2, v9, v2, vcc
	v_lshrrev_b32_e32 v3, 16, v10
	v_and_or_b32 v2, v3, s11, v2
	v_and_or_b32 v3, v14, s6, v13
	v_cmp_ne_u32_e32 vcc, 0, v3
	v_cndmask_b32_e64 v3, 0, 1, vcc
	v_lshrrev_b32_e32 v4, 8, v14
	v_bfe_u32 v6, v14, 20, 11
	v_and_or_b32 v3, v4, s7, v3
	v_sub_u32_e32 v9, 0x3f1, v6
	v_or_b32_e32 v4, 0x1000, v3
	v_med3_i32 v9, v9, 0, 13
	v_lshrrev_b32_e32 v10, v9, v4
	v_lshlrev_b32_e32 v9, v9, v10
	v_cmp_ne_u32_e32 vcc, v9, v4
	v_cndmask_b32_e64 v4, 0, 1, vcc
	v_add_u32_e32 v6, 0xfffffc10, v6
	v_or_b32_e32 v4, v10, v4
	v_lshl_or_b32 v9, v6, 12, v3
	v_cmp_gt_i32_e32 vcc, 1, v6
	v_cndmask_b32_e32 v4, v9, v4, vcc
	v_and_b32_e32 v9, 7, v4
	v_cmp_lt_i32_e32 vcc, 5, v9
	v_cmp_eq_u32_e64 s[0:1], 3, v9
	v_lshrrev_b32_e32 v4, 2, v4
	s_or_b64 vcc, s[0:1], vcc
	v_addc_co_u32_e32 v4, vcc, 0, v4, vcc
	v_cmp_gt_i32_e32 vcc, 31, v6
	v_cndmask_b32_e32 v9, v8, v4, vcc
	v_cmp_ne_u32_e32 vcc, 0, v3
	v_cndmask_b32_e64 v3, 0, 1, vcc
	v_lshl_or_b32 v10, v3, 9, v8
	ds_read2_b32 v[3:4], v109 offset0:110 offset1:235
	v_cmp_eq_u32_e32 vcc, s10, v6
	v_cndmask_b32_e32 v6, v9, v10, vcc
	v_lshrrev_b32_e32 v9, 16, v14
	v_and_or_b32 v6, v9, s11, v6
	s_waitcnt lgkmcnt(0)
	v_lshrrev_b32_e32 v13, 16, v3
	v_mul_f16_sdwa v9, v102, v13 dst_sel:DWORD dst_unused:UNUSED_PAD src0_sel:WORD_1 src1_sel:DWORD
	v_fma_f16 v9, v102, v3, v9
	v_cvt_f32_f16_e32 v9, v9
	s_mul_hi_u32 s1, s8, 0xffffdae4
	s_mul_i32 s0, s9, 0xffffdae4
	s_sub_i32 s9, s1, s8
	v_cvt_f64_f32_e32 v[9:10], v9
	v_and_b32_e32 v2, 0xffff, v2
	s_add_i32 s9, s9, s0
	s_mulk_i32 s8, 0xdae4
	v_mul_f64 v[9:10], v[9:10], s[2:3]
	v_lshl_or_b32 v2, v6, 16, v2
	v_mov_b32_e32 v6, s9
	v_add_co_u32_e32 v11, vcc, s8, v11
	v_addc_co_u32_e32 v12, vcc, v12, v6, vcc
	global_store_dword v[11:12], v2, off
	v_and_or_b32 v2, v10, s6, v9
	v_cmp_ne_u32_e32 vcc, 0, v2
	v_cndmask_b32_e64 v2, 0, 1, vcc
	v_lshrrev_b32_e32 v6, 8, v10
	v_bfe_u32 v9, v10, 20, 11
	v_and_or_b32 v6, v6, s7, v2
	v_sub_u32_e32 v14, 0x3f1, v9
	v_or_b32_e32 v2, 0x1000, v6
	v_med3_i32 v14, v14, 0, 13
	v_lshrrev_b32_e32 v15, v14, v2
	v_mul_f16_sdwa v3, v102, v3 dst_sel:DWORD dst_unused:UNUSED_PAD src0_sel:WORD_1 src1_sel:DWORD
	v_lshlrev_b32_e32 v14, v14, v15
	v_fma_f16 v3, v102, v13, -v3
	v_cmp_ne_u32_e32 vcc, v14, v2
	v_cvt_f32_f16_e32 v3, v3
	v_cndmask_b32_e64 v2, 0, 1, vcc
	v_add_u32_e32 v9, 0xfffffc10, v9
	v_or_b32_e32 v2, v15, v2
	v_lshl_or_b32 v14, v9, 12, v6
	v_cmp_gt_i32_e32 vcc, 1, v9
	v_cndmask_b32_e32 v2, v14, v2, vcc
	v_and_b32_e32 v14, 7, v2
	v_lshrrev_b32_e32 v13, 2, v2
	v_cvt_f64_f32_e32 v[2:3], v3
	v_cmp_lt_i32_e32 vcc, 5, v14
	v_cmp_eq_u32_e64 s[0:1], 3, v14
	s_or_b64 vcc, s[0:1], vcc
	v_mul_f64 v[2:3], v[2:3], s[2:3]
	v_addc_co_u32_e32 v13, vcc, 0, v13, vcc
	v_cmp_gt_i32_e32 vcc, 31, v9
	v_cndmask_b32_e32 v13, v8, v13, vcc
	v_cmp_ne_u32_e32 vcc, 0, v6
	v_cndmask_b32_e64 v6, 0, 1, vcc
	v_lshl_or_b32 v6, v6, 9, v8
	v_cmp_eq_u32_e32 vcc, s10, v9
	v_and_or_b32 v2, v3, s6, v2
	v_cndmask_b32_e32 v6, v13, v6, vcc
	v_lshrrev_b32_e32 v9, 16, v10
	v_cmp_ne_u32_e32 vcc, 0, v2
	v_and_or_b32 v6, v9, s11, v6
	v_cndmask_b32_e64 v2, 0, 1, vcc
	v_lshrrev_b32_e32 v9, 8, v3
	v_bfe_u32 v10, v3, 20, 11
	v_and_or_b32 v2, v9, s7, v2
	v_sub_u32_e32 v13, 0x3f1, v10
	v_or_b32_e32 v9, 0x1000, v2
	v_med3_i32 v13, v13, 0, 13
	v_lshrrev_b32_e32 v14, v13, v9
	v_lshlrev_b32_e32 v13, v13, v14
	v_cmp_ne_u32_e32 vcc, v13, v9
	v_cndmask_b32_e64 v9, 0, 1, vcc
	v_add_u32_e32 v10, 0xfffffc10, v10
	v_or_b32_e32 v9, v14, v9
	v_lshl_or_b32 v13, v10, 12, v2
	v_cmp_gt_i32_e32 vcc, 1, v10
	v_cndmask_b32_e32 v9, v13, v9, vcc
	v_and_b32_e32 v13, 7, v9
	v_cmp_lt_i32_e32 vcc, 5, v13
	v_cmp_eq_u32_e64 s[0:1], 3, v13
	v_lshrrev_b32_e32 v13, 16, v5
	v_lshrrev_b32_e32 v9, 2, v9
	s_or_b64 vcc, s[0:1], vcc
	v_mul_f16_sdwa v14, v105, v13 dst_sel:DWORD dst_unused:UNUSED_PAD src0_sel:WORD_1 src1_sel:DWORD
	v_addc_co_u32_e32 v9, vcc, 0, v9, vcc
	v_fma_f16 v14, v105, v5, v14
	v_cmp_gt_i32_e32 vcc, 31, v10
	v_cvt_f32_f16_e32 v14, v14
	v_cndmask_b32_e32 v9, v8, v9, vcc
	v_cmp_ne_u32_e32 vcc, 0, v2
	v_cndmask_b32_e64 v2, 0, 1, vcc
	v_lshl_or_b32 v2, v2, 9, v8
	v_cmp_eq_u32_e32 vcc, s10, v10
	v_cndmask_b32_e32 v2, v9, v2, vcc
	v_cvt_f64_f32_e32 v[9:10], v14
	v_lshrrev_b32_e32 v3, 16, v3
	v_and_or_b32 v14, v3, s11, v2
	v_and_b32_e32 v6, 0xffff, v6
	v_mul_f64 v[2:3], v[9:10], s[2:3]
	v_mov_b32_e32 v10, s4
	v_add_co_u32_e32 v9, vcc, s5, v11
	v_addc_co_u32_e32 v10, vcc, v12, v10, vcc
	v_lshl_or_b32 v6, v14, 16, v6
	global_store_dword v[9:10], v6, off
	v_and_or_b32 v2, v3, s6, v2
	v_cmp_ne_u32_e32 vcc, 0, v2
	v_cndmask_b32_e64 v2, 0, 1, vcc
	v_lshrrev_b32_e32 v6, 8, v3
	v_bfe_u32 v11, v3, 20, 11
	v_and_or_b32 v2, v6, s7, v2
	v_sub_u32_e32 v12, 0x3f1, v11
	v_or_b32_e32 v6, 0x1000, v2
	v_med3_i32 v12, v12, 0, 13
	v_lshrrev_b32_e32 v14, v12, v6
	v_lshlrev_b32_e32 v12, v12, v14
	v_cmp_ne_u32_e32 vcc, v12, v6
	v_mul_f16_sdwa v5, v105, v5 dst_sel:DWORD dst_unused:UNUSED_PAD src0_sel:WORD_1 src1_sel:DWORD
	v_cndmask_b32_e64 v6, 0, 1, vcc
	v_fma_f16 v5, v105, v13, -v5
	v_or_b32_e32 v6, v14, v6
	v_add_u32_e32 v14, 0xfffffc10, v11
	v_cvt_f32_f16_e32 v5, v5
	v_lshl_or_b32 v11, v14, 12, v2
	v_cmp_gt_i32_e32 vcc, 1, v14
	v_cndmask_b32_e32 v6, v11, v6, vcc
	v_and_b32_e32 v11, 7, v6
	v_cmp_lt_i32_e32 vcc, 5, v11
	v_cmp_eq_u32_e64 s[0:1], 3, v11
	v_lshrrev_b32_e32 v11, 2, v6
	v_cvt_f64_f32_e32 v[5:6], v5
	s_or_b64 vcc, s[0:1], vcc
	v_addc_co_u32_e32 v11, vcc, 0, v11, vcc
	v_cmp_gt_i32_e32 vcc, 31, v14
	v_cndmask_b32_e32 v13, v8, v11, vcc
	v_mul_f64 v[11:12], v[5:6], s[2:3]
	v_cmp_ne_u32_e32 vcc, 0, v2
	v_cndmask_b32_e64 v2, 0, 1, vcc
	v_lshl_or_b32 v2, v2, 9, v8
	v_cmp_eq_u32_e32 vcc, s10, v14
	v_cndmask_b32_e32 v2, v13, v2, vcc
	v_lshrrev_b32_e32 v3, 16, v3
	v_and_or_b32 v13, v3, s11, v2
	v_and_or_b32 v2, v12, s6, v11
	v_cmp_ne_u32_e32 vcc, 0, v2
	v_cndmask_b32_e64 v2, 0, 1, vcc
	v_lshrrev_b32_e32 v3, 8, v12
	v_bfe_u32 v5, v12, 20, 11
	v_and_or_b32 v2, v3, s7, v2
	v_sub_u32_e32 v6, 0x3f1, v5
	v_or_b32_e32 v3, 0x1000, v2
	v_med3_i32 v6, v6, 0, 13
	v_lshrrev_b32_e32 v11, v6, v3
	v_lshlrev_b32_e32 v6, v6, v11
	v_cmp_ne_u32_e32 vcc, v6, v3
	v_cndmask_b32_e64 v3, 0, 1, vcc
	v_or_b32_e32 v3, v11, v3
	v_add_u32_e32 v11, 0xfffffc10, v5
	v_lshl_or_b32 v5, v11, 12, v2
	v_cmp_gt_i32_e32 vcc, 1, v11
	v_cndmask_b32_e32 v3, v5, v3, vcc
	v_and_b32_e32 v5, 7, v3
	v_cmp_lt_i32_e32 vcc, 5, v5
	v_cmp_eq_u32_e64 s[0:1], 3, v5
	ds_read2_b32 v[5:6], v107 offset0:80 offset1:205
	v_lshrrev_b32_e32 v3, 2, v3
	s_or_b64 vcc, s[0:1], vcc
	v_addc_co_u32_e32 v3, vcc, 0, v3, vcc
	s_waitcnt lgkmcnt(0)
	v_lshrrev_b32_e32 v14, 16, v5
	v_mul_f16_sdwa v15, v103, v14 dst_sel:DWORD dst_unused:UNUSED_PAD src0_sel:WORD_1 src1_sel:DWORD
	v_fma_f16 v15, v103, v5, v15
	v_cmp_gt_i32_e32 vcc, 31, v11
	v_cvt_f32_f16_e32 v15, v15
	v_cndmask_b32_e32 v3, v8, v3, vcc
	v_cmp_ne_u32_e32 vcc, 0, v2
	v_cndmask_b32_e64 v2, 0, 1, vcc
	v_lshl_or_b32 v2, v2, 9, v8
	v_cmp_eq_u32_e32 vcc, s10, v11
	v_cndmask_b32_e32 v11, v3, v2, vcc
	v_cvt_f64_f32_e32 v[2:3], v15
	v_lshrrev_b32_e32 v12, 16, v12
	v_and_or_b32 v11, v12, s11, v11
	v_and_b32_e32 v12, 0xffff, v13
	v_mul_f64 v[2:3], v[2:3], s[2:3]
	v_lshl_or_b32 v11, v11, 16, v12
	v_mov_b32_e32 v12, s4
	v_add_co_u32_e32 v9, vcc, s5, v9
	v_addc_co_u32_e32 v10, vcc, v10, v12, vcc
	global_store_dword v[9:10], v11, off
	v_and_or_b32 v2, v3, s6, v2
	v_cmp_ne_u32_e32 vcc, 0, v2
	v_cndmask_b32_e64 v2, 0, 1, vcc
	v_lshrrev_b32_e32 v11, 8, v3
	v_bfe_u32 v12, v3, 20, 11
	v_and_or_b32 v2, v11, s7, v2
	v_sub_u32_e32 v13, 0x3f1, v12
	v_or_b32_e32 v11, 0x1000, v2
	v_med3_i32 v13, v13, 0, 13
	v_lshrrev_b32_e32 v15, v13, v11
	v_lshlrev_b32_e32 v13, v13, v15
	v_mul_f16_sdwa v5, v103, v5 dst_sel:DWORD dst_unused:UNUSED_PAD src0_sel:WORD_1 src1_sel:DWORD
	v_cmp_ne_u32_e32 vcc, v13, v11
	v_fma_f16 v5, v103, v14, -v5
	v_cndmask_b32_e64 v11, 0, 1, vcc
	v_add_u32_e32 v13, 0xfffffc10, v12
	v_cvt_f32_f16_e32 v5, v5
	v_or_b32_e32 v11, v15, v11
	v_lshl_or_b32 v12, v13, 12, v2
	v_cmp_gt_i32_e32 vcc, 1, v13
	v_cndmask_b32_e32 v11, v12, v11, vcc
	v_and_b32_e32 v12, 7, v11
	v_cmp_lt_i32_e32 vcc, 5, v12
	v_cmp_eq_u32_e64 s[0:1], 3, v12
	v_lshrrev_b32_e32 v14, 2, v11
	v_cvt_f64_f32_e32 v[11:12], v5
	s_or_b64 vcc, s[0:1], vcc
	v_addc_co_u32_e32 v5, vcc, 0, v14, vcc
	v_mul_f64 v[11:12], v[11:12], s[2:3]
	v_cmp_gt_i32_e32 vcc, 31, v13
	v_cndmask_b32_e32 v5, v8, v5, vcc
	v_cmp_ne_u32_e32 vcc, 0, v2
	v_cndmask_b32_e64 v2, 0, 1, vcc
	v_lshl_or_b32 v2, v2, 9, v8
	v_cmp_eq_u32_e32 vcc, s10, v13
	v_cndmask_b32_e32 v2, v5, v2, vcc
	v_lshrrev_b32_e32 v3, 16, v3
	v_and_or_b32 v5, v3, s11, v2
	v_and_or_b32 v2, v12, s6, v11
	v_cmp_ne_u32_e32 vcc, 0, v2
	v_cndmask_b32_e64 v2, 0, 1, vcc
	v_lshrrev_b32_e32 v3, 8, v12
	v_bfe_u32 v11, v12, 20, 11
	v_and_or_b32 v2, v3, s7, v2
	v_sub_u32_e32 v13, 0x3f1, v11
	v_or_b32_e32 v3, 0x1000, v2
	v_med3_i32 v13, v13, 0, 13
	v_lshrrev_b32_e32 v14, v13, v3
	v_lshlrev_b32_e32 v13, v13, v14
	v_cmp_ne_u32_e32 vcc, v13, v3
	v_cndmask_b32_e64 v3, 0, 1, vcc
	v_add_u32_e32 v11, 0xfffffc10, v11
	v_or_b32_e32 v3, v14, v3
	v_lshl_or_b32 v13, v11, 12, v2
	v_cmp_gt_i32_e32 vcc, 1, v11
	v_cndmask_b32_e32 v3, v13, v3, vcc
	v_and_b32_e32 v13, 7, v3
	v_cmp_lt_i32_e32 vcc, 5, v13
	v_cmp_eq_u32_e64 s[0:1], 3, v13
	v_lshrrev_b32_e32 v13, 16, v7
	v_lshrrev_b32_e32 v3, 2, v3
	s_or_b64 vcc, s[0:1], vcc
	v_mul_f16_sdwa v14, v100, v13 dst_sel:DWORD dst_unused:UNUSED_PAD src0_sel:WORD_1 src1_sel:DWORD
	v_addc_co_u32_e32 v3, vcc, 0, v3, vcc
	v_fma_f16 v14, v100, v7, v14
	v_cmp_gt_i32_e32 vcc, 31, v11
	v_cvt_f32_f16_e32 v14, v14
	v_cndmask_b32_e32 v3, v8, v3, vcc
	v_cmp_ne_u32_e32 vcc, 0, v2
	v_cndmask_b32_e64 v2, 0, 1, vcc
	v_lshl_or_b32 v2, v2, 9, v8
	v_cmp_eq_u32_e32 vcc, s10, v11
	v_cndmask_b32_e32 v11, v3, v2, vcc
	v_cvt_f64_f32_e32 v[2:3], v14
	v_lshrrev_b32_e32 v12, 16, v12
	v_and_or_b32 v11, v12, s11, v11
	v_and_b32_e32 v5, 0xffff, v5
	v_mul_f64 v[2:3], v[2:3], s[2:3]
	v_lshl_or_b32 v5, v11, 16, v5
	v_mov_b32_e32 v11, s4
	v_add_co_u32_e32 v9, vcc, s5, v9
	v_addc_co_u32_e32 v10, vcc, v10, v11, vcc
	global_store_dword v[9:10], v5, off
	v_and_or_b32 v2, v3, s6, v2
	v_cmp_ne_u32_e32 vcc, 0, v2
	v_cndmask_b32_e64 v2, 0, 1, vcc
	v_lshrrev_b32_e32 v5, 8, v3
	v_bfe_u32 v11, v3, 20, 11
	v_and_or_b32 v2, v5, s7, v2
	v_sub_u32_e32 v12, 0x3f1, v11
	v_or_b32_e32 v5, 0x1000, v2
	v_med3_i32 v12, v12, 0, 13
	v_lshrrev_b32_e32 v14, v12, v5
	v_lshlrev_b32_e32 v12, v12, v14
	v_cmp_ne_u32_e32 vcc, v12, v5
	v_mul_f16_sdwa v7, v100, v7 dst_sel:DWORD dst_unused:UNUSED_PAD src0_sel:WORD_1 src1_sel:DWORD
	v_cndmask_b32_e64 v5, 0, 1, vcc
	v_fma_f16 v7, v100, v13, -v7
	v_or_b32_e32 v5, v14, v5
	v_add_u32_e32 v14, 0xfffffc10, v11
	v_cvt_f32_f16_e32 v7, v7
	v_lshl_or_b32 v11, v14, 12, v2
	v_cmp_gt_i32_e32 vcc, 1, v14
	v_cndmask_b32_e32 v5, v11, v5, vcc
	v_and_b32_e32 v11, 7, v5
	v_cmp_lt_i32_e32 vcc, 5, v11
	v_cmp_eq_u32_e64 s[0:1], 3, v11
	v_cvt_f64_f32_e32 v[11:12], v7
	v_lshrrev_b32_e32 v5, 2, v5
	s_or_b64 vcc, s[0:1], vcc
	v_addc_co_u32_e32 v5, vcc, 0, v5, vcc
	v_mul_f64 v[11:12], v[11:12], s[2:3]
	v_cmp_gt_i32_e32 vcc, 31, v14
	v_cndmask_b32_e32 v5, v8, v5, vcc
	v_cmp_ne_u32_e32 vcc, 0, v2
	v_cndmask_b32_e64 v2, 0, 1, vcc
	v_lshl_or_b32 v2, v2, 9, v8
	v_cmp_eq_u32_e32 vcc, s10, v14
	v_cndmask_b32_e32 v2, v5, v2, vcc
	v_lshrrev_b32_e32 v3, 16, v3
	v_and_or_b32 v5, v3, s11, v2
	v_and_or_b32 v2, v12, s6, v11
	v_cmp_ne_u32_e32 vcc, 0, v2
	v_cndmask_b32_e64 v2, 0, 1, vcc
	v_lshrrev_b32_e32 v3, 8, v12
	v_and_or_b32 v7, v3, s7, v2
	v_bfe_u32 v3, v12, 20, 11
	v_sub_u32_e32 v11, 0x3f1, v3
	v_or_b32_e32 v2, 0x1000, v7
	v_med3_i32 v11, v11, 0, 13
	v_lshrrev_b32_e32 v13, v11, v2
	v_lshlrev_b32_e32 v11, v11, v13
	v_cmp_ne_u32_e32 vcc, v11, v2
	v_cndmask_b32_e64 v2, 0, 1, vcc
	v_add_u32_e32 v11, 0xfffffc10, v3
	v_or_b32_e32 v2, v13, v2
	v_lshl_or_b32 v3, v11, 12, v7
	v_cmp_gt_i32_e32 vcc, 1, v11
	v_cndmask_b32_e32 v2, v3, v2, vcc
	v_and_b32_e32 v3, 7, v2
	v_cmp_lt_i32_e32 vcc, 5, v3
	v_cmp_eq_u32_e64 s[0:1], 3, v3
	v_lshrrev_b32_e32 v2, 2, v2
	s_or_b64 vcc, s[0:1], vcc
	v_addc_co_u32_e32 v13, vcc, 0, v2, vcc
	ds_read2_b32 v[2:3], v104 offset0:122 offset1:247
	v_cmp_gt_i32_e32 vcc, 31, v11
	v_cndmask_b32_e32 v13, v8, v13, vcc
	v_cmp_ne_u32_e32 vcc, 0, v7
	v_cndmask_b32_e64 v7, 0, 1, vcc
	s_waitcnt lgkmcnt(0)
	v_lshrrev_b32_e32 v15, 16, v2
	v_mul_f16_sdwa v14, v97, v15 dst_sel:DWORD dst_unused:UNUSED_PAD src0_sel:WORD_1 src1_sel:DWORD
	v_fma_f16 v14, v97, v2, v14
	v_cvt_f32_f16_e32 v14, v14
	v_lshl_or_b32 v7, v7, 9, v8
	v_cmp_eq_u32_e32 vcc, s10, v11
	v_cndmask_b32_e32 v7, v13, v7, vcc
	v_cvt_f64_f32_e32 v[13:14], v14
	v_lshrrev_b32_e32 v11, 16, v12
	v_and_or_b32 v7, v11, s11, v7
	v_and_b32_e32 v5, 0xffff, v5
	v_mul_f64 v[11:12], v[13:14], s[2:3]
	v_lshl_or_b32 v5, v7, 16, v5
	v_mov_b32_e32 v7, s4
	v_add_co_u32_e32 v9, vcc, s5, v9
	v_addc_co_u32_e32 v10, vcc, v10, v7, vcc
	global_store_dword v[9:10], v5, off
	v_and_or_b32 v5, v12, s6, v11
	v_cmp_ne_u32_e32 vcc, 0, v5
	v_cndmask_b32_e64 v5, 0, 1, vcc
	v_lshrrev_b32_e32 v7, 8, v12
	v_bfe_u32 v11, v12, 20, 11
	v_and_or_b32 v5, v7, s7, v5
	v_sub_u32_e32 v13, 0x3f1, v11
	v_or_b32_e32 v7, 0x1000, v5
	v_med3_i32 v13, v13, 0, 13
	v_lshrrev_b32_e32 v14, v13, v7
	v_lshlrev_b32_e32 v13, v13, v14
	v_mul_f16_sdwa v2, v97, v2 dst_sel:DWORD dst_unused:UNUSED_PAD src0_sel:WORD_1 src1_sel:DWORD
	v_cmp_ne_u32_e32 vcc, v13, v7
	v_fma_f16 v2, v97, v15, -v2
	v_cndmask_b32_e64 v7, 0, 1, vcc
	v_add_u32_e32 v11, 0xfffffc10, v11
	v_cvt_f32_f16_e32 v2, v2
	v_or_b32_e32 v7, v14, v7
	v_lshl_or_b32 v13, v11, 12, v5
	v_cmp_gt_i32_e32 vcc, 1, v11
	v_cndmask_b32_e32 v7, v13, v7, vcc
	v_and_b32_e32 v13, 7, v7
	v_cmp_lt_i32_e32 vcc, 5, v13
	v_cmp_eq_u32_e64 s[0:1], 3, v13
	v_cvt_f64_f32_e32 v[13:14], v2
	v_lshrrev_b32_e32 v7, 2, v7
	s_or_b64 vcc, s[0:1], vcc
	v_addc_co_u32_e32 v2, vcc, 0, v7, vcc
	v_mul_f64 v[13:14], v[13:14], s[2:3]
	v_cmp_gt_i32_e32 vcc, 31, v11
	v_cndmask_b32_e32 v2, v8, v2, vcc
	v_cmp_ne_u32_e32 vcc, 0, v5
	v_cndmask_b32_e64 v5, 0, 1, vcc
	v_lshl_or_b32 v5, v5, 9, v8
	v_cmp_eq_u32_e32 vcc, s10, v11
	v_cndmask_b32_e32 v2, v2, v5, vcc
	v_lshrrev_b32_e32 v5, 16, v12
	v_and_or_b32 v2, v5, s11, v2
	v_and_or_b32 v5, v14, s6, v13
	v_cmp_ne_u32_e32 vcc, 0, v5
	v_cndmask_b32_e64 v5, 0, 1, vcc
	v_lshrrev_b32_e32 v7, 8, v14
	v_bfe_u32 v11, v14, 20, 11
	v_and_or_b32 v5, v7, s7, v5
	v_sub_u32_e32 v12, 0x3f1, v11
	v_or_b32_e32 v7, 0x1000, v5
	v_med3_i32 v12, v12, 0, 13
	v_lshrrev_b32_e32 v13, v12, v7
	v_lshlrev_b32_e32 v12, v12, v13
	v_cmp_ne_u32_e32 vcc, v12, v7
	v_cndmask_b32_e64 v7, 0, 1, vcc
	v_add_u32_e32 v11, 0xfffffc10, v11
	v_or_b32_e32 v7, v13, v7
	v_lshl_or_b32 v12, v11, 12, v5
	v_cmp_gt_i32_e32 vcc, 1, v11
	v_cndmask_b32_e32 v7, v12, v7, vcc
	v_and_b32_e32 v12, 7, v7
	v_lshrrev_b32_e32 v13, 16, v4
	v_cmp_lt_i32_e32 vcc, 5, v12
	v_cmp_eq_u32_e64 s[0:1], 3, v12
	v_mul_f16_sdwa v12, v95, v13 dst_sel:DWORD dst_unused:UNUSED_PAD src0_sel:WORD_1 src1_sel:DWORD
	v_fma_f16 v12, v95, v4, v12
	v_lshrrev_b32_e32 v7, 2, v7
	s_or_b64 vcc, s[0:1], vcc
	v_cvt_f32_f16_e32 v12, v12
	v_addc_co_u32_e32 v7, vcc, 0, v7, vcc
	v_cmp_gt_i32_e32 vcc, 31, v11
	v_cndmask_b32_e32 v7, v8, v7, vcc
	v_cmp_ne_u32_e32 vcc, 0, v5
	v_cndmask_b32_e64 v5, 0, 1, vcc
	v_cmp_eq_u32_e32 vcc, s10, v11
	v_cvt_f64_f32_e32 v[11:12], v12
	v_lshl_or_b32 v5, v5, 9, v8
	v_cndmask_b32_e32 v5, v7, v5, vcc
	v_lshrrev_b32_e32 v7, 16, v14
	v_mul_f64 v[11:12], v[11:12], s[2:3]
	v_and_or_b32 v5, v7, s11, v5
	v_and_b32_e32 v2, 0xffff, v2
	v_lshl_or_b32 v2, v5, 16, v2
	v_mov_b32_e32 v5, s9
	v_add_co_u32_e32 v9, vcc, s8, v9
	v_addc_co_u32_e32 v10, vcc, v10, v5, vcc
	global_store_dword v[9:10], v2, off
	v_and_or_b32 v2, v12, s6, v11
	v_cmp_ne_u32_e32 vcc, 0, v2
	v_cndmask_b32_e64 v2, 0, 1, vcc
	v_lshrrev_b32_e32 v5, 8, v12
	v_bfe_u32 v7, v12, 20, 11
	v_and_or_b32 v2, v5, s7, v2
	v_sub_u32_e32 v11, 0x3f1, v7
	v_or_b32_e32 v5, 0x1000, v2
	v_med3_i32 v11, v11, 0, 13
	v_lshrrev_b32_e32 v14, v11, v5
	v_lshlrev_b32_e32 v11, v11, v14
	v_mul_f16_sdwa v4, v95, v4 dst_sel:DWORD dst_unused:UNUSED_PAD src0_sel:WORD_1 src1_sel:DWORD
	v_cmp_ne_u32_e32 vcc, v11, v5
	v_fma_f16 v4, v95, v13, -v4
	v_cndmask_b32_e64 v5, 0, 1, vcc
	v_add_u32_e32 v7, 0xfffffc10, v7
	v_cvt_f32_f16_e32 v4, v4
	v_or_b32_e32 v5, v14, v5
	v_lshl_or_b32 v11, v7, 12, v2
	v_cmp_gt_i32_e32 vcc, 1, v7
	v_cndmask_b32_e32 v5, v11, v5, vcc
	v_and_b32_e32 v11, 7, v5
	v_cmp_lt_i32_e32 vcc, 5, v11
	v_cmp_eq_u32_e64 s[0:1], 3, v11
	v_lshrrev_b32_e32 v11, 2, v5
	v_cvt_f64_f32_e32 v[4:5], v4
	s_or_b64 vcc, s[0:1], vcc
	v_addc_co_u32_e32 v11, vcc, 0, v11, vcc
	v_mul_f64 v[13:14], v[4:5], s[2:3]
	v_cmp_gt_i32_e32 vcc, 31, v7
	v_cndmask_b32_e32 v11, v8, v11, vcc
	v_cmp_ne_u32_e32 vcc, 0, v2
	v_cndmask_b32_e64 v2, 0, 1, vcc
	v_lshl_or_b32 v2, v2, 9, v8
	v_cmp_eq_u32_e32 vcc, s10, v7
	v_cndmask_b32_e32 v2, v11, v2, vcc
	v_lshrrev_b32_e32 v4, 16, v12
	v_and_or_b32 v2, v4, s11, v2
	v_and_or_b32 v4, v14, s6, v13
	v_cmp_ne_u32_e32 vcc, 0, v4
	v_cndmask_b32_e64 v4, 0, 1, vcc
	v_lshrrev_b32_e32 v5, 8, v14
	v_and_or_b32 v7, v5, s7, v4
	v_bfe_u32 v5, v14, 20, 11
	v_sub_u32_e32 v11, 0x3f1, v5
	v_or_b32_e32 v4, 0x1000, v7
	v_med3_i32 v11, v11, 0, 13
	v_lshrrev_b32_e32 v12, v11, v4
	v_lshlrev_b32_e32 v11, v11, v12
	v_cmp_ne_u32_e32 vcc, v11, v4
	v_cndmask_b32_e64 v4, 0, 1, vcc
	v_add_u32_e32 v11, 0xfffffc10, v5
	v_or_b32_e32 v4, v12, v4
	v_lshl_or_b32 v5, v11, 12, v7
	v_cmp_gt_i32_e32 vcc, 1, v11
	v_cndmask_b32_e32 v4, v5, v4, vcc
	v_and_b32_e32 v5, 7, v4
	v_cmp_lt_i32_e32 vcc, 5, v5
	v_cmp_eq_u32_e64 s[0:1], 3, v5
	v_lshrrev_b32_e32 v4, 2, v4
	s_or_b64 vcc, s[0:1], vcc
	v_addc_co_u32_e32 v12, vcc, 0, v4, vcc
	ds_read2_b32 v[4:5], v101 offset0:92 offset1:217
	v_cmp_gt_i32_e32 vcc, 31, v11
	v_cndmask_b32_e32 v12, v8, v12, vcc
	v_cmp_ne_u32_e32 vcc, 0, v7
	v_cndmask_b32_e64 v7, 0, 1, vcc
	s_waitcnt lgkmcnt(0)
	v_lshrrev_b32_e32 v13, 16, v4
	v_mul_f16_sdwa v15, v98, v13 dst_sel:DWORD dst_unused:UNUSED_PAD src0_sel:WORD_1 src1_sel:DWORD
	v_fma_f16 v15, v98, v4, v15
	v_cvt_f32_f16_e32 v15, v15
	v_lshl_or_b32 v7, v7, 9, v8
	v_cmp_eq_u32_e32 vcc, s10, v11
	v_cndmask_b32_e32 v7, v12, v7, vcc
	v_cvt_f64_f32_e32 v[11:12], v15
	v_lshrrev_b32_e32 v14, 16, v14
	v_and_or_b32 v7, v14, s11, v7
	v_and_b32_e32 v2, 0xffff, v2
	v_mul_f64 v[11:12], v[11:12], s[2:3]
	v_lshl_or_b32 v2, v7, 16, v2
	v_mov_b32_e32 v7, s4
	v_add_co_u32_e32 v9, vcc, s5, v9
	v_addc_co_u32_e32 v10, vcc, v10, v7, vcc
	global_store_dword v[9:10], v2, off
	v_and_or_b32 v2, v12, s6, v11
	v_cmp_ne_u32_e32 vcc, 0, v2
	v_cndmask_b32_e64 v2, 0, 1, vcc
	v_lshrrev_b32_e32 v7, 8, v12
	v_bfe_u32 v11, v12, 20, 11
	v_and_or_b32 v2, v7, s7, v2
	v_sub_u32_e32 v14, 0x3f1, v11
	v_or_b32_e32 v7, 0x1000, v2
	v_med3_i32 v14, v14, 0, 13
	v_lshrrev_b32_e32 v15, v14, v7
	v_lshlrev_b32_e32 v14, v14, v15
	v_mul_f16_sdwa v4, v98, v4 dst_sel:DWORD dst_unused:UNUSED_PAD src0_sel:WORD_1 src1_sel:DWORD
	v_cmp_ne_u32_e32 vcc, v14, v7
	v_fma_f16 v4, v98, v13, -v4
	v_cndmask_b32_e64 v7, 0, 1, vcc
	v_add_u32_e32 v11, 0xfffffc10, v11
	v_cvt_f32_f16_e32 v4, v4
	v_or_b32_e32 v7, v15, v7
	v_lshl_or_b32 v14, v11, 12, v2
	v_cmp_gt_i32_e32 vcc, 1, v11
	v_cndmask_b32_e32 v7, v14, v7, vcc
	v_and_b32_e32 v14, 7, v7
	v_cmp_lt_i32_e32 vcc, 5, v14
	v_cmp_eq_u32_e64 s[0:1], 3, v14
	v_cvt_f64_f32_e32 v[13:14], v4
	v_lshrrev_b32_e32 v7, 2, v7
	s_or_b64 vcc, s[0:1], vcc
	v_addc_co_u32_e32 v4, vcc, 0, v7, vcc
	v_mul_f64 v[13:14], v[13:14], s[2:3]
	v_cmp_gt_i32_e32 vcc, 31, v11
	v_cndmask_b32_e32 v4, v8, v4, vcc
	v_cmp_ne_u32_e32 vcc, 0, v2
	v_cndmask_b32_e64 v2, 0, 1, vcc
	v_lshl_or_b32 v2, v2, 9, v8
	v_cmp_eq_u32_e32 vcc, s10, v11
	v_cndmask_b32_e32 v2, v4, v2, vcc
	v_lshrrev_b32_e32 v4, 16, v12
	v_and_or_b32 v2, v4, s11, v2
	v_and_or_b32 v4, v14, s6, v13
	v_cmp_ne_u32_e32 vcc, 0, v4
	v_cndmask_b32_e64 v4, 0, 1, vcc
	v_lshrrev_b32_e32 v7, 8, v14
	v_bfe_u32 v11, v14, 20, 11
	v_and_or_b32 v4, v7, s7, v4
	v_sub_u32_e32 v12, 0x3f1, v11
	v_or_b32_e32 v7, 0x1000, v4
	v_med3_i32 v12, v12, 0, 13
	v_lshrrev_b32_e32 v13, v12, v7
	v_lshlrev_b32_e32 v12, v12, v13
	v_cmp_ne_u32_e32 vcc, v12, v7
	v_cndmask_b32_e64 v7, 0, 1, vcc
	v_add_u32_e32 v11, 0xfffffc10, v11
	v_or_b32_e32 v7, v13, v7
	v_lshl_or_b32 v12, v11, 12, v4
	v_cmp_gt_i32_e32 vcc, 1, v11
	v_cndmask_b32_e32 v7, v12, v7, vcc
	v_and_b32_e32 v12, 7, v7
	v_lshrrev_b32_e32 v13, 16, v6
	v_cmp_lt_i32_e32 vcc, 5, v12
	v_cmp_eq_u32_e64 s[0:1], 3, v12
	v_mul_f16_sdwa v12, v96, v13 dst_sel:DWORD dst_unused:UNUSED_PAD src0_sel:WORD_1 src1_sel:DWORD
	v_fma_f16 v12, v96, v6, v12
	v_lshrrev_b32_e32 v7, 2, v7
	s_or_b64 vcc, s[0:1], vcc
	v_cvt_f32_f16_e32 v12, v12
	v_addc_co_u32_e32 v7, vcc, 0, v7, vcc
	v_cmp_gt_i32_e32 vcc, 31, v11
	v_cndmask_b32_e32 v7, v8, v7, vcc
	v_cmp_ne_u32_e32 vcc, 0, v4
	v_cndmask_b32_e64 v4, 0, 1, vcc
	v_cmp_eq_u32_e32 vcc, s10, v11
	v_cvt_f64_f32_e32 v[11:12], v12
	v_lshl_or_b32 v4, v4, 9, v8
	v_cndmask_b32_e32 v4, v7, v4, vcc
	v_lshrrev_b32_e32 v7, 16, v14
	v_mul_f64 v[11:12], v[11:12], s[2:3]
	v_and_or_b32 v4, v7, s11, v4
	v_and_b32_e32 v2, 0xffff, v2
	v_lshl_or_b32 v2, v4, 16, v2
	v_mov_b32_e32 v4, s4
	v_add_co_u32_e32 v9, vcc, s5, v9
	v_addc_co_u32_e32 v10, vcc, v10, v4, vcc
	global_store_dword v[9:10], v2, off
	v_and_or_b32 v2, v12, s6, v11
	v_cmp_ne_u32_e32 vcc, 0, v2
	v_cndmask_b32_e64 v2, 0, 1, vcc
	v_lshrrev_b32_e32 v4, 8, v12
	v_bfe_u32 v7, v12, 20, 11
	v_and_or_b32 v2, v4, s7, v2
	v_sub_u32_e32 v11, 0x3f1, v7
	v_or_b32_e32 v4, 0x1000, v2
	v_med3_i32 v11, v11, 0, 13
	v_lshrrev_b32_e32 v14, v11, v4
	v_lshlrev_b32_e32 v11, v11, v14
	v_mul_f16_sdwa v6, v96, v6 dst_sel:DWORD dst_unused:UNUSED_PAD src0_sel:WORD_1 src1_sel:DWORD
	v_cmp_ne_u32_e32 vcc, v11, v4
	v_fma_f16 v6, v96, v13, -v6
	v_cndmask_b32_e64 v4, 0, 1, vcc
	v_add_u32_e32 v11, 0xfffffc10, v7
	v_cvt_f32_f16_e32 v6, v6
	v_or_b32_e32 v4, v14, v4
	v_lshl_or_b32 v7, v11, 12, v2
	v_cmp_gt_i32_e32 vcc, 1, v11
	v_cndmask_b32_e32 v4, v7, v4, vcc
	v_and_b32_e32 v7, 7, v4
	v_cmp_lt_i32_e32 vcc, 5, v7
	v_cmp_eq_u32_e64 s[0:1], 3, v7
	v_cvt_f64_f32_e32 v[6:7], v6
	v_lshrrev_b32_e32 v4, 2, v4
	s_or_b64 vcc, s[0:1], vcc
	v_addc_co_u32_e32 v4, vcc, 0, v4, vcc
	v_mul_f64 v[13:14], v[6:7], s[2:3]
	v_cmp_gt_i32_e32 vcc, 31, v11
	v_cndmask_b32_e32 v4, v8, v4, vcc
	v_cmp_ne_u32_e32 vcc, 0, v2
	v_cndmask_b32_e64 v2, 0, 1, vcc
	v_lshl_or_b32 v2, v2, 9, v8
	v_cmp_eq_u32_e32 vcc, s10, v11
	v_cndmask_b32_e32 v2, v4, v2, vcc
	v_lshrrev_b32_e32 v4, 16, v12
	v_and_or_b32 v2, v4, s11, v2
	v_and_or_b32 v4, v14, s6, v13
	v_cmp_ne_u32_e32 vcc, 0, v4
	v_cndmask_b32_e64 v4, 0, 1, vcc
	v_lshrrev_b32_e32 v6, 8, v14
	v_bfe_u32 v7, v14, 20, 11
	v_and_or_b32 v4, v6, s7, v4
	v_sub_u32_e32 v11, 0x3f1, v7
	v_or_b32_e32 v6, 0x1000, v4
	v_med3_i32 v11, v11, 0, 13
	v_lshrrev_b32_e32 v12, v11, v6
	v_lshlrev_b32_e32 v11, v11, v12
	v_cmp_ne_u32_e32 vcc, v11, v6
	v_cndmask_b32_e64 v6, 0, 1, vcc
	v_add_u32_e32 v11, 0xfffffc10, v7
	v_or_b32_e32 v6, v12, v6
	v_lshl_or_b32 v7, v11, 12, v4
	v_cmp_gt_i32_e32 vcc, 1, v11
	v_cndmask_b32_e32 v6, v7, v6, vcc
	v_and_b32_e32 v7, 7, v6
	v_cmp_lt_i32_e32 vcc, 5, v7
	v_cmp_eq_u32_e64 s[0:1], 3, v7
	v_lshrrev_b32_e32 v6, 2, v6
	s_or_b64 vcc, s[0:1], vcc
	v_addc_co_u32_e32 v12, vcc, 0, v6, vcc
	ds_read2_b32 v[6:7], v99 offset0:62 offset1:187
	v_cmp_gt_i32_e32 vcc, 31, v11
	v_cndmask_b32_e32 v12, v8, v12, vcc
	v_cmp_ne_u32_e32 vcc, 0, v4
	v_cndmask_b32_e64 v4, 0, 1, vcc
	s_waitcnt lgkmcnt(0)
	v_lshrrev_b32_e32 v13, 16, v6
	v_mul_f16_sdwa v15, v93, v13 dst_sel:DWORD dst_unused:UNUSED_PAD src0_sel:WORD_1 src1_sel:DWORD
	v_fma_f16 v15, v93, v6, v15
	v_cvt_f32_f16_e32 v15, v15
	v_lshl_or_b32 v4, v4, 9, v8
	v_cmp_eq_u32_e32 vcc, s10, v11
	v_cndmask_b32_e32 v4, v12, v4, vcc
	v_cvt_f64_f32_e32 v[11:12], v15
	v_lshrrev_b32_e32 v14, 16, v14
	v_and_or_b32 v4, v14, s11, v4
	v_and_b32_e32 v2, 0xffff, v2
	v_mul_f64 v[11:12], v[11:12], s[2:3]
	v_lshl_or_b32 v2, v4, 16, v2
	v_mov_b32_e32 v4, s4
	v_add_co_u32_e32 v9, vcc, s5, v9
	v_addc_co_u32_e32 v10, vcc, v10, v4, vcc
	global_store_dword v[9:10], v2, off
	v_and_or_b32 v2, v12, s6, v11
	v_cmp_ne_u32_e32 vcc, 0, v2
	v_cndmask_b32_e64 v2, 0, 1, vcc
	v_lshrrev_b32_e32 v4, 8, v12
	v_bfe_u32 v11, v12, 20, 11
	v_and_or_b32 v2, v4, s7, v2
	v_sub_u32_e32 v14, 0x3f1, v11
	v_or_b32_e32 v4, 0x1000, v2
	v_med3_i32 v14, v14, 0, 13
	v_lshrrev_b32_e32 v15, v14, v4
	v_lshlrev_b32_e32 v14, v14, v15
	v_mul_f16_sdwa v6, v93, v6 dst_sel:DWORD dst_unused:UNUSED_PAD src0_sel:WORD_1 src1_sel:DWORD
	v_cmp_ne_u32_e32 vcc, v14, v4
	v_fma_f16 v6, v93, v13, -v6
	v_cndmask_b32_e64 v4, 0, 1, vcc
	v_add_u32_e32 v11, 0xfffffc10, v11
	v_cvt_f32_f16_e32 v6, v6
	v_or_b32_e32 v4, v15, v4
	v_lshl_or_b32 v14, v11, 12, v2
	v_cmp_gt_i32_e32 vcc, 1, v11
	v_cndmask_b32_e32 v4, v14, v4, vcc
	v_and_b32_e32 v14, 7, v4
	v_cmp_lt_i32_e32 vcc, 5, v14
	v_cmp_eq_u32_e64 s[0:1], 3, v14
	v_cvt_f64_f32_e32 v[13:14], v6
	v_lshrrev_b32_e32 v4, 2, v4
	s_or_b64 vcc, s[0:1], vcc
	v_addc_co_u32_e32 v4, vcc, 0, v4, vcc
	v_mul_f64 v[13:14], v[13:14], s[2:3]
	v_cmp_gt_i32_e32 vcc, 31, v11
	v_cndmask_b32_e32 v4, v8, v4, vcc
	v_cmp_ne_u32_e32 vcc, 0, v2
	v_cndmask_b32_e64 v2, 0, 1, vcc
	v_lshl_or_b32 v2, v2, 9, v8
	v_cmp_eq_u32_e32 vcc, s10, v11
	v_cndmask_b32_e32 v2, v4, v2, vcc
	v_lshrrev_b32_e32 v4, 16, v12
	v_and_or_b32 v2, v4, s11, v2
	v_and_or_b32 v4, v14, s6, v13
	v_cmp_ne_u32_e32 vcc, 0, v4
	v_cndmask_b32_e64 v4, 0, 1, vcc
	v_lshrrev_b32_e32 v6, 8, v14
	v_bfe_u32 v11, v14, 20, 11
	v_and_or_b32 v4, v6, s7, v4
	v_sub_u32_e32 v12, 0x3f1, v11
	v_or_b32_e32 v6, 0x1000, v4
	v_med3_i32 v12, v12, 0, 13
	v_lshrrev_b32_e32 v13, v12, v6
	v_lshlrev_b32_e32 v12, v12, v13
	v_cmp_ne_u32_e32 vcc, v12, v6
	v_cndmask_b32_e64 v6, 0, 1, vcc
	v_add_u32_e32 v11, 0xfffffc10, v11
	v_or_b32_e32 v6, v13, v6
	v_lshl_or_b32 v12, v11, 12, v4
	v_cmp_gt_i32_e32 vcc, 1, v11
	v_cndmask_b32_e32 v6, v12, v6, vcc
	v_and_b32_e32 v12, 7, v6
	v_lshrrev_b32_e32 v13, 16, v3
	v_cmp_lt_i32_e32 vcc, 5, v12
	v_cmp_eq_u32_e64 s[0:1], 3, v12
	v_mul_f16_sdwa v12, v90, v13 dst_sel:DWORD dst_unused:UNUSED_PAD src0_sel:WORD_1 src1_sel:DWORD
	v_fma_f16 v12, v90, v3, v12
	v_lshrrev_b32_e32 v6, 2, v6
	s_or_b64 vcc, s[0:1], vcc
	v_cvt_f32_f16_e32 v12, v12
	v_addc_co_u32_e32 v6, vcc, 0, v6, vcc
	v_cmp_gt_i32_e32 vcc, 31, v11
	v_cndmask_b32_e32 v6, v8, v6, vcc
	v_cmp_ne_u32_e32 vcc, 0, v4
	v_cndmask_b32_e64 v4, 0, 1, vcc
	v_cmp_eq_u32_e32 vcc, s10, v11
	v_cvt_f64_f32_e32 v[11:12], v12
	v_lshl_or_b32 v4, v4, 9, v8
	v_cndmask_b32_e32 v4, v6, v4, vcc
	v_lshrrev_b32_e32 v6, 16, v14
	v_mul_f64 v[11:12], v[11:12], s[2:3]
	v_and_or_b32 v4, v6, s11, v4
	v_and_b32_e32 v2, 0xffff, v2
	v_lshl_or_b32 v2, v4, 16, v2
	v_mov_b32_e32 v4, s4
	v_add_co_u32_e32 v9, vcc, s5, v9
	v_addc_co_u32_e32 v10, vcc, v10, v4, vcc
	global_store_dword v[9:10], v2, off
	v_and_or_b32 v2, v12, s6, v11
	v_cmp_ne_u32_e32 vcc, 0, v2
	v_cndmask_b32_e64 v2, 0, 1, vcc
	v_lshrrev_b32_e32 v4, 8, v12
	v_and_or_b32 v6, v4, s7, v2
	v_bfe_u32 v4, v12, 20, 11
	v_sub_u32_e32 v11, 0x3f1, v4
	v_or_b32_e32 v2, 0x1000, v6
	v_med3_i32 v11, v11, 0, 13
	v_lshrrev_b32_e32 v14, v11, v2
	v_lshlrev_b32_e32 v11, v11, v14
	v_mul_f16_sdwa v3, v90, v3 dst_sel:DWORD dst_unused:UNUSED_PAD src0_sel:WORD_1 src1_sel:DWORD
	v_cmp_ne_u32_e32 vcc, v11, v2
	v_fma_f16 v3, v90, v13, -v3
	v_cndmask_b32_e64 v2, 0, 1, vcc
	v_add_u32_e32 v11, 0xfffffc10, v4
	v_cvt_f32_f16_e32 v3, v3
	v_or_b32_e32 v2, v14, v2
	v_lshl_or_b32 v4, v11, 12, v6
	v_cmp_gt_i32_e32 vcc, 1, v11
	v_cndmask_b32_e32 v2, v4, v2, vcc
	v_and_b32_e32 v4, 7, v2
	v_cmp_lt_i32_e32 vcc, 5, v4
	v_cmp_eq_u32_e64 s[0:1], 3, v4
	v_lshrrev_b32_e32 v4, 2, v2
	v_cvt_f64_f32_e32 v[2:3], v3
	s_or_b64 vcc, s[0:1], vcc
	v_addc_co_u32_e32 v4, vcc, 0, v4, vcc
	v_cmp_gt_i32_e32 vcc, 31, v11
	v_cndmask_b32_e32 v13, v8, v4, vcc
	v_mul_f64 v[3:4], v[2:3], s[2:3]
	v_cmp_ne_u32_e32 vcc, 0, v6
	v_cndmask_b32_e64 v2, 0, 1, vcc
	v_lshl_or_b32 v2, v2, 9, v8
	v_cmp_eq_u32_e32 vcc, s10, v11
	v_cndmask_b32_e32 v2, v13, v2, vcc
	v_lshrrev_b32_e32 v6, 16, v12
	v_and_or_b32 v6, v6, s11, v2
	v_and_or_b32 v2, v4, s6, v3
	v_cmp_ne_u32_e32 vcc, 0, v2
	v_cndmask_b32_e64 v2, 0, 1, vcc
	v_lshrrev_b32_e32 v3, 8, v4
	v_and_or_b32 v11, v3, s7, v2
	v_bfe_u32 v3, v4, 20, 11
	v_sub_u32_e32 v12, 0x3f1, v3
	v_or_b32_e32 v2, 0x1000, v11
	v_med3_i32 v12, v12, 0, 13
	v_lshrrev_b32_e32 v13, v12, v2
	v_lshlrev_b32_e32 v12, v12, v13
	v_cmp_ne_u32_e32 vcc, v12, v2
	v_cndmask_b32_e64 v2, 0, 1, vcc
	v_add_u32_e32 v12, 0xfffffc10, v3
	v_or_b32_e32 v2, v13, v2
	v_lshl_or_b32 v3, v12, 12, v11
	v_cmp_gt_i32_e32 vcc, 1, v12
	v_cndmask_b32_e32 v2, v3, v2, vcc
	v_and_b32_e32 v3, 7, v2
	v_cmp_lt_i32_e32 vcc, 5, v3
	v_cmp_eq_u32_e64 s[0:1], 3, v3
	v_lshrrev_b32_e32 v2, 2, v2
	s_or_b64 vcc, s[0:1], vcc
	v_addc_co_u32_e32 v13, vcc, 0, v2, vcc
	ds_read2_b32 v[2:3], v94 offset0:104 offset1:229
	v_cmp_gt_i32_e32 vcc, 31, v12
	v_cndmask_b32_e32 v13, v8, v13, vcc
	v_cmp_ne_u32_e32 vcc, 0, v11
	v_cndmask_b32_e64 v11, 0, 1, vcc
	s_waitcnt lgkmcnt(0)
	v_lshrrev_b32_e32 v14, 16, v2
	v_mul_f16_sdwa v15, v92, v14 dst_sel:DWORD dst_unused:UNUSED_PAD src0_sel:WORD_1 src1_sel:DWORD
	v_fma_f16 v15, v92, v2, v15
	v_cvt_f32_f16_e32 v15, v15
	v_lshl_or_b32 v11, v11, 9, v8
	v_cmp_eq_u32_e32 vcc, s10, v12
	v_cndmask_b32_e32 v13, v13, v11, vcc
	v_cvt_f64_f32_e32 v[11:12], v15
	v_lshrrev_b32_e32 v4, 16, v4
	v_and_or_b32 v4, v4, s11, v13
	v_and_b32_e32 v6, 0xffff, v6
	v_mul_f64 v[11:12], v[11:12], s[2:3]
	v_lshl_or_b32 v4, v4, 16, v6
	v_mov_b32_e32 v6, s9
	v_add_co_u32_e32 v9, vcc, s8, v9
	v_addc_co_u32_e32 v10, vcc, v10, v6, vcc
	global_store_dword v[9:10], v4, off
	v_and_or_b32 v4, v12, s6, v11
	v_cmp_ne_u32_e32 vcc, 0, v4
	v_cndmask_b32_e64 v4, 0, 1, vcc
	v_lshrrev_b32_e32 v6, 8, v12
	v_bfe_u32 v11, v12, 20, 11
	v_and_or_b32 v4, v6, s7, v4
	v_sub_u32_e32 v13, 0x3f1, v11
	v_or_b32_e32 v6, 0x1000, v4
	v_med3_i32 v13, v13, 0, 13
	v_lshrrev_b32_e32 v15, v13, v6
	v_lshlrev_b32_e32 v13, v13, v15
	v_mul_f16_sdwa v2, v92, v2 dst_sel:DWORD dst_unused:UNUSED_PAD src0_sel:WORD_1 src1_sel:DWORD
	v_cmp_ne_u32_e32 vcc, v13, v6
	v_fma_f16 v2, v92, v14, -v2
	v_cndmask_b32_e64 v6, 0, 1, vcc
	v_add_u32_e32 v11, 0xfffffc10, v11
	v_cvt_f32_f16_e32 v2, v2
	v_or_b32_e32 v6, v15, v6
	v_lshl_or_b32 v13, v11, 12, v4
	v_cmp_gt_i32_e32 vcc, 1, v11
	v_cndmask_b32_e32 v6, v13, v6, vcc
	v_and_b32_e32 v13, 7, v6
	v_cmp_lt_i32_e32 vcc, 5, v13
	v_cmp_eq_u32_e64 s[0:1], 3, v13
	v_cvt_f64_f32_e32 v[13:14], v2
	v_lshrrev_b32_e32 v6, 2, v6
	s_or_b64 vcc, s[0:1], vcc
	v_addc_co_u32_e32 v2, vcc, 0, v6, vcc
	v_mul_f64 v[13:14], v[13:14], s[2:3]
	v_cmp_gt_i32_e32 vcc, 31, v11
	v_cndmask_b32_e32 v2, v8, v2, vcc
	v_cmp_ne_u32_e32 vcc, 0, v4
	v_cndmask_b32_e64 v4, 0, 1, vcc
	v_lshl_or_b32 v4, v4, 9, v8
	v_cmp_eq_u32_e32 vcc, s10, v11
	v_cndmask_b32_e32 v2, v2, v4, vcc
	v_lshrrev_b32_e32 v4, 16, v12
	v_and_or_b32 v2, v4, s11, v2
	v_and_or_b32 v4, v14, s6, v13
	v_cmp_ne_u32_e32 vcc, 0, v4
	v_cndmask_b32_e64 v4, 0, 1, vcc
	v_lshrrev_b32_e32 v6, 8, v14
	v_bfe_u32 v11, v14, 20, 11
	v_and_or_b32 v4, v6, s7, v4
	v_sub_u32_e32 v12, 0x3f1, v11
	v_or_b32_e32 v6, 0x1000, v4
	v_med3_i32 v12, v12, 0, 13
	v_lshrrev_b32_e32 v13, v12, v6
	v_lshlrev_b32_e32 v12, v12, v13
	v_cmp_ne_u32_e32 vcc, v12, v6
	v_cndmask_b32_e64 v6, 0, 1, vcc
	v_add_u32_e32 v11, 0xfffffc10, v11
	v_or_b32_e32 v6, v13, v6
	v_lshl_or_b32 v12, v11, 12, v4
	v_cmp_gt_i32_e32 vcc, 1, v11
	v_cndmask_b32_e32 v6, v12, v6, vcc
	v_and_b32_e32 v12, 7, v6
	v_lshrrev_b32_e32 v13, 16, v5
	v_cmp_lt_i32_e32 vcc, 5, v12
	v_cmp_eq_u32_e64 s[0:1], 3, v12
	v_mul_f16_sdwa v12, v89, v13 dst_sel:DWORD dst_unused:UNUSED_PAD src0_sel:WORD_1 src1_sel:DWORD
	v_fma_f16 v12, v89, v5, v12
	v_lshrrev_b32_e32 v6, 2, v6
	s_or_b64 vcc, s[0:1], vcc
	v_cvt_f32_f16_e32 v12, v12
	v_addc_co_u32_e32 v6, vcc, 0, v6, vcc
	v_cmp_gt_i32_e32 vcc, 31, v11
	v_cndmask_b32_e32 v6, v8, v6, vcc
	v_cmp_ne_u32_e32 vcc, 0, v4
	v_cndmask_b32_e64 v4, 0, 1, vcc
	v_cmp_eq_u32_e32 vcc, s10, v11
	v_cvt_f64_f32_e32 v[11:12], v12
	v_lshl_or_b32 v4, v4, 9, v8
	v_cndmask_b32_e32 v4, v6, v4, vcc
	v_lshrrev_b32_e32 v6, 16, v14
	v_mul_f64 v[11:12], v[11:12], s[2:3]
	v_and_or_b32 v4, v6, s11, v4
	v_and_b32_e32 v2, 0xffff, v2
	v_lshl_or_b32 v2, v4, 16, v2
	v_mov_b32_e32 v4, s4
	v_add_co_u32_e32 v9, vcc, s5, v9
	v_addc_co_u32_e32 v10, vcc, v10, v4, vcc
	global_store_dword v[9:10], v2, off
	v_and_or_b32 v2, v12, s6, v11
	v_cmp_ne_u32_e32 vcc, 0, v2
	v_cndmask_b32_e64 v2, 0, 1, vcc
	v_lshrrev_b32_e32 v4, 8, v12
	v_bfe_u32 v6, v12, 20, 11
	v_and_or_b32 v2, v4, s7, v2
	v_sub_u32_e32 v11, 0x3f1, v6
	v_or_b32_e32 v4, 0x1000, v2
	v_med3_i32 v11, v11, 0, 13
	v_lshrrev_b32_e32 v14, v11, v4
	v_lshlrev_b32_e32 v11, v11, v14
	v_mul_f16_sdwa v5, v89, v5 dst_sel:DWORD dst_unused:UNUSED_PAD src0_sel:WORD_1 src1_sel:DWORD
	v_cmp_ne_u32_e32 vcc, v11, v4
	v_fma_f16 v5, v89, v13, -v5
	v_cndmask_b32_e64 v4, 0, 1, vcc
	v_add_u32_e32 v11, 0xfffffc10, v6
	v_cvt_f32_f16_e32 v5, v5
	v_or_b32_e32 v4, v14, v4
	v_lshl_or_b32 v6, v11, 12, v2
	v_cmp_gt_i32_e32 vcc, 1, v11
	v_cndmask_b32_e32 v4, v6, v4, vcc
	v_and_b32_e32 v6, 7, v4
	v_cmp_lt_i32_e32 vcc, 5, v6
	v_cmp_eq_u32_e64 s[0:1], 3, v6
	v_lshrrev_b32_e32 v6, 2, v4
	v_cvt_f64_f32_e32 v[4:5], v5
	s_or_b64 vcc, s[0:1], vcc
	v_addc_co_u32_e32 v6, vcc, 0, v6, vcc
	v_cmp_gt_i32_e32 vcc, 31, v11
	v_cndmask_b32_e32 v13, v8, v6, vcc
	v_mul_f64 v[5:6], v[4:5], s[2:3]
	v_cmp_ne_u32_e32 vcc, 0, v2
	v_cndmask_b32_e64 v2, 0, 1, vcc
	v_lshl_or_b32 v2, v2, 9, v8
	v_cmp_eq_u32_e32 vcc, s10, v11
	v_cndmask_b32_e32 v2, v13, v2, vcc
	v_lshrrev_b32_e32 v4, 16, v12
	v_and_or_b32 v2, v4, s11, v2
	v_and_or_b32 v4, v6, s6, v5
	v_cmp_ne_u32_e32 vcc, 0, v4
	v_cndmask_b32_e64 v4, 0, 1, vcc
	v_lshrrev_b32_e32 v5, 8, v6
	v_and_or_b32 v11, v5, s7, v4
	v_bfe_u32 v5, v6, 20, 11
	v_sub_u32_e32 v12, 0x3f1, v5
	v_or_b32_e32 v4, 0x1000, v11
	v_med3_i32 v12, v12, 0, 13
	v_lshrrev_b32_e32 v13, v12, v4
	v_lshlrev_b32_e32 v12, v12, v13
	v_cmp_ne_u32_e32 vcc, v12, v4
	v_cndmask_b32_e64 v4, 0, 1, vcc
	v_add_u32_e32 v12, 0xfffffc10, v5
	v_or_b32_e32 v4, v13, v4
	v_lshl_or_b32 v5, v12, 12, v11
	v_cmp_gt_i32_e32 vcc, 1, v12
	v_cndmask_b32_e32 v4, v5, v4, vcc
	v_and_b32_e32 v5, 7, v4
	v_cmp_lt_i32_e32 vcc, 5, v5
	v_cmp_eq_u32_e64 s[0:1], 3, v5
	v_lshrrev_b32_e32 v4, 2, v4
	s_or_b64 vcc, s[0:1], vcc
	v_addc_co_u32_e32 v13, vcc, 0, v4, vcc
	ds_read2_b32 v[4:5], v91 offset0:74 offset1:199
	v_cmp_gt_i32_e32 vcc, 31, v12
	v_cndmask_b32_e32 v13, v8, v13, vcc
	v_cmp_ne_u32_e32 vcc, 0, v11
	v_cndmask_b32_e64 v11, 0, 1, vcc
	s_waitcnt lgkmcnt(0)
	v_lshrrev_b32_e32 v14, 16, v4
	v_mul_f16_sdwa v15, v88, v14 dst_sel:DWORD dst_unused:UNUSED_PAD src0_sel:WORD_1 src1_sel:DWORD
	v_fma_f16 v15, v88, v4, v15
	v_cvt_f32_f16_e32 v15, v15
	v_lshl_or_b32 v11, v11, 9, v8
	v_cmp_eq_u32_e32 vcc, s10, v12
	v_cndmask_b32_e32 v13, v13, v11, vcc
	v_cvt_f64_f32_e32 v[11:12], v15
	v_lshrrev_b32_e32 v6, 16, v6
	v_and_or_b32 v6, v6, s11, v13
	v_and_b32_e32 v2, 0xffff, v2
	v_mul_f64 v[11:12], v[11:12], s[2:3]
	v_lshl_or_b32 v2, v6, 16, v2
	v_mov_b32_e32 v6, s4
	v_add_co_u32_e32 v9, vcc, s5, v9
	v_addc_co_u32_e32 v10, vcc, v10, v6, vcc
	global_store_dword v[9:10], v2, off
	v_and_or_b32 v2, v12, s6, v11
	v_cmp_ne_u32_e32 vcc, 0, v2
	v_cndmask_b32_e64 v2, 0, 1, vcc
	v_lshrrev_b32_e32 v6, 8, v12
	v_bfe_u32 v11, v12, 20, 11
	v_and_or_b32 v2, v6, s7, v2
	v_sub_u32_e32 v13, 0x3f1, v11
	v_or_b32_e32 v6, 0x1000, v2
	v_med3_i32 v13, v13, 0, 13
	v_lshrrev_b32_e32 v15, v13, v6
	v_lshlrev_b32_e32 v13, v13, v15
	v_mul_f16_sdwa v4, v88, v4 dst_sel:DWORD dst_unused:UNUSED_PAD src0_sel:WORD_1 src1_sel:DWORD
	v_cmp_ne_u32_e32 vcc, v13, v6
	v_fma_f16 v4, v88, v14, -v4
	v_cndmask_b32_e64 v6, 0, 1, vcc
	v_add_u32_e32 v11, 0xfffffc10, v11
	v_cvt_f32_f16_e32 v4, v4
	v_or_b32_e32 v6, v15, v6
	v_lshl_or_b32 v13, v11, 12, v2
	v_cmp_gt_i32_e32 vcc, 1, v11
	v_cndmask_b32_e32 v6, v13, v6, vcc
	v_and_b32_e32 v13, 7, v6
	v_cmp_lt_i32_e32 vcc, 5, v13
	v_cmp_eq_u32_e64 s[0:1], 3, v13
	v_cvt_f64_f32_e32 v[13:14], v4
	v_lshrrev_b32_e32 v6, 2, v6
	s_or_b64 vcc, s[0:1], vcc
	v_addc_co_u32_e32 v4, vcc, 0, v6, vcc
	v_mul_f64 v[13:14], v[13:14], s[2:3]
	v_cmp_gt_i32_e32 vcc, 31, v11
	v_cndmask_b32_e32 v4, v8, v4, vcc
	v_cmp_ne_u32_e32 vcc, 0, v2
	v_cndmask_b32_e64 v2, 0, 1, vcc
	v_lshl_or_b32 v2, v2, 9, v8
	v_cmp_eq_u32_e32 vcc, s10, v11
	v_cndmask_b32_e32 v2, v4, v2, vcc
	v_lshrrev_b32_e32 v4, 16, v12
	v_and_or_b32 v2, v4, s11, v2
	v_and_or_b32 v4, v14, s6, v13
	v_cmp_ne_u32_e32 vcc, 0, v4
	v_cndmask_b32_e64 v4, 0, 1, vcc
	v_lshrrev_b32_e32 v6, 8, v14
	v_bfe_u32 v11, v14, 20, 11
	v_and_or_b32 v4, v6, s7, v4
	v_sub_u32_e32 v12, 0x3f1, v11
	v_or_b32_e32 v6, 0x1000, v4
	v_med3_i32 v12, v12, 0, 13
	v_lshrrev_b32_e32 v13, v12, v6
	v_lshlrev_b32_e32 v12, v12, v13
	v_cmp_ne_u32_e32 vcc, v12, v6
	v_cndmask_b32_e64 v6, 0, 1, vcc
	v_add_u32_e32 v11, 0xfffffc10, v11
	v_or_b32_e32 v6, v13, v6
	v_lshl_or_b32 v12, v11, 12, v4
	v_cmp_gt_i32_e32 vcc, 1, v11
	v_cndmask_b32_e32 v6, v12, v6, vcc
	v_and_b32_e32 v12, 7, v6
	v_lshrrev_b32_e32 v13, 16, v7
	v_cmp_lt_i32_e32 vcc, 5, v12
	v_cmp_eq_u32_e64 s[0:1], 3, v12
	v_mul_f16_sdwa v12, v87, v13 dst_sel:DWORD dst_unused:UNUSED_PAD src0_sel:WORD_1 src1_sel:DWORD
	v_fma_f16 v12, v87, v7, v12
	v_lshrrev_b32_e32 v6, 2, v6
	s_or_b64 vcc, s[0:1], vcc
	v_cvt_f32_f16_e32 v12, v12
	v_addc_co_u32_e32 v6, vcc, 0, v6, vcc
	v_cmp_gt_i32_e32 vcc, 31, v11
	v_cndmask_b32_e32 v6, v8, v6, vcc
	v_cmp_ne_u32_e32 vcc, 0, v4
	v_cndmask_b32_e64 v4, 0, 1, vcc
	v_cmp_eq_u32_e32 vcc, s10, v11
	v_cvt_f64_f32_e32 v[11:12], v12
	v_lshl_or_b32 v4, v4, 9, v8
	v_cndmask_b32_e32 v4, v6, v4, vcc
	v_lshrrev_b32_e32 v6, 16, v14
	v_mul_f64 v[11:12], v[11:12], s[2:3]
	v_and_or_b32 v4, v6, s11, v4
	v_and_b32_e32 v2, 0xffff, v2
	v_lshl_or_b32 v2, v4, 16, v2
	v_mov_b32_e32 v4, s4
	v_add_co_u32_e32 v9, vcc, s5, v9
	v_addc_co_u32_e32 v10, vcc, v10, v4, vcc
	global_store_dword v[9:10], v2, off
	v_and_or_b32 v2, v12, s6, v11
	v_cmp_ne_u32_e32 vcc, 0, v2
	v_cndmask_b32_e64 v2, 0, 1, vcc
	v_lshrrev_b32_e32 v4, 8, v12
	v_bfe_u32 v6, v12, 20, 11
	v_and_or_b32 v2, v4, s7, v2
	v_sub_u32_e32 v11, 0x3f1, v6
	v_or_b32_e32 v4, 0x1000, v2
	v_med3_i32 v11, v11, 0, 13
	v_lshrrev_b32_e32 v14, v11, v4
	v_lshlrev_b32_e32 v11, v11, v14
	v_mul_f16_sdwa v7, v87, v7 dst_sel:DWORD dst_unused:UNUSED_PAD src0_sel:WORD_1 src1_sel:DWORD
	v_cmp_ne_u32_e32 vcc, v11, v4
	v_fma_f16 v7, v87, v13, -v7
	v_cndmask_b32_e64 v4, 0, 1, vcc
	v_add_u32_e32 v11, 0xfffffc10, v6
	v_cvt_f32_f16_e32 v7, v7
	v_or_b32_e32 v4, v14, v4
	v_lshl_or_b32 v6, v11, 12, v2
	v_cmp_gt_i32_e32 vcc, 1, v11
	v_cndmask_b32_e32 v4, v6, v4, vcc
	v_and_b32_e32 v6, 7, v4
	v_cmp_lt_i32_e32 vcc, 5, v6
	v_cmp_eq_u32_e64 s[0:1], 3, v6
	v_cvt_f64_f32_e32 v[6:7], v7
	v_lshrrev_b32_e32 v4, 2, v4
	s_or_b64 vcc, s[0:1], vcc
	v_addc_co_u32_e32 v4, vcc, 0, v4, vcc
	v_mul_f64 v[6:7], v[6:7], s[2:3]
	v_cmp_gt_i32_e32 vcc, 31, v11
	v_cndmask_b32_e32 v4, v8, v4, vcc
	v_cmp_ne_u32_e32 vcc, 0, v2
	v_cndmask_b32_e64 v2, 0, 1, vcc
	v_lshl_or_b32 v2, v2, 9, v8
	v_cmp_eq_u32_e32 vcc, s10, v11
	v_cndmask_b32_e32 v2, v4, v2, vcc
	v_lshrrev_b32_e32 v4, 16, v12
	v_and_or_b32 v2, v4, s11, v2
	v_and_or_b32 v4, v7, s6, v6
	v_cmp_ne_u32_e32 vcc, 0, v4
	v_cndmask_b32_e64 v4, 0, 1, vcc
	v_lshrrev_b32_e32 v6, 8, v7
	v_bfe_u32 v11, v7, 20, 11
	v_and_or_b32 v4, v6, s7, v4
	v_sub_u32_e32 v12, 0x3f1, v11
	v_or_b32_e32 v6, 0x1000, v4
	v_med3_i32 v12, v12, 0, 13
	v_lshrrev_b32_e32 v13, v12, v6
	v_lshlrev_b32_e32 v12, v12, v13
	v_cmp_ne_u32_e32 vcc, v12, v6
	v_cndmask_b32_e64 v6, 0, 1, vcc
	v_add_u32_e32 v11, 0xfffffc10, v11
	v_or_b32_e32 v6, v13, v6
	v_lshl_or_b32 v12, v11, 12, v4
	v_cmp_gt_i32_e32 vcc, 1, v11
	v_cndmask_b32_e32 v6, v12, v6, vcc
	v_and_b32_e32 v12, 7, v6
	v_lshrrev_b32_e32 v13, 16, v0
	v_cmp_lt_i32_e32 vcc, 5, v12
	v_cmp_eq_u32_e64 s[0:1], 3, v12
	v_mul_f16_sdwa v12, v85, v13 dst_sel:DWORD dst_unused:UNUSED_PAD src0_sel:WORD_1 src1_sel:DWORD
	v_fma_f16 v12, v85, v0, v12
	v_lshrrev_b32_e32 v6, 2, v6
	s_or_b64 vcc, s[0:1], vcc
	v_cvt_f32_f16_e32 v12, v12
	v_addc_co_u32_e32 v6, vcc, 0, v6, vcc
	v_cmp_gt_i32_e32 vcc, 31, v11
	v_cndmask_b32_e32 v6, v8, v6, vcc
	v_cmp_ne_u32_e32 vcc, 0, v4
	v_cndmask_b32_e64 v4, 0, 1, vcc
	v_cmp_eq_u32_e32 vcc, s10, v11
	v_cvt_f64_f32_e32 v[11:12], v12
	v_lshl_or_b32 v4, v4, 9, v8
	v_cndmask_b32_e32 v4, v6, v4, vcc
	v_lshrrev_b32_e32 v6, 16, v7
	v_and_or_b32 v4, v6, s11, v4
	v_mul_f64 v[6:7], v[11:12], s[2:3]
	v_and_b32_e32 v2, 0xffff, v2
	v_lshl_or_b32 v2, v4, 16, v2
	v_mov_b32_e32 v4, s4
	v_add_co_u32_e32 v9, vcc, s5, v9
	v_addc_co_u32_e32 v10, vcc, v10, v4, vcc
	global_store_dword v[9:10], v2, off
	v_and_or_b32 v2, v7, s6, v6
	v_cmp_ne_u32_e32 vcc, 0, v2
	v_cndmask_b32_e64 v2, 0, 1, vcc
	v_lshrrev_b32_e32 v4, 8, v7
	v_bfe_u32 v6, v7, 20, 11
	v_and_or_b32 v2, v4, s7, v2
	v_sub_u32_e32 v11, 0x3f1, v6
	v_or_b32_e32 v4, 0x1000, v2
	v_med3_i32 v11, v11, 0, 13
	v_lshrrev_b32_e32 v12, v11, v4
	v_lshlrev_b32_e32 v11, v11, v12
	v_mul_f16_sdwa v0, v85, v0 dst_sel:DWORD dst_unused:UNUSED_PAD src0_sel:WORD_1 src1_sel:DWORD
	v_cmp_ne_u32_e32 vcc, v11, v4
	v_fma_f16 v0, v85, v13, -v0
	v_cndmask_b32_e64 v4, 0, 1, vcc
	v_add_u32_e32 v6, 0xfffffc10, v6
	v_cvt_f32_f16_e32 v0, v0
	v_or_b32_e32 v4, v12, v4
	v_lshl_or_b32 v11, v6, 12, v2
	v_cmp_gt_i32_e32 vcc, 1, v6
	v_cndmask_b32_e32 v4, v11, v4, vcc
	v_and_b32_e32 v11, 7, v4
	v_cmp_lt_i32_e32 vcc, 5, v11
	v_cmp_eq_u32_e64 s[0:1], 3, v11
	v_cvt_f64_f32_e32 v[11:12], v0
	v_lshrrev_b32_e32 v4, 2, v4
	s_or_b64 vcc, s[0:1], vcc
	v_addc_co_u32_e32 v0, vcc, 0, v4, vcc
	v_mul_f64 v[11:12], v[11:12], s[2:3]
	v_cmp_gt_i32_e32 vcc, 31, v6
	v_cndmask_b32_e32 v0, v8, v0, vcc
	v_cmp_ne_u32_e32 vcc, 0, v2
	v_cndmask_b32_e64 v2, 0, 1, vcc
	v_lshl_or_b32 v2, v2, 9, v8
	v_cmp_eq_u32_e32 vcc, s10, v6
	v_cndmask_b32_e32 v0, v0, v2, vcc
	v_lshrrev_b32_e32 v2, 16, v7
	v_and_or_b32 v0, v2, s11, v0
	v_and_or_b32 v2, v12, s6, v11
	v_cmp_ne_u32_e32 vcc, 0, v2
	v_cndmask_b32_e64 v2, 0, 1, vcc
	v_lshrrev_b32_e32 v4, 8, v12
	v_bfe_u32 v6, v12, 20, 11
	v_and_or_b32 v2, v4, s7, v2
	v_sub_u32_e32 v7, 0x3f1, v6
	v_or_b32_e32 v4, 0x1000, v2
	v_med3_i32 v7, v7, 0, 13
	v_lshrrev_b32_e32 v11, v7, v4
	v_lshlrev_b32_e32 v7, v7, v11
	v_cmp_ne_u32_e32 vcc, v7, v4
	v_cndmask_b32_e64 v4, 0, 1, vcc
	v_add_u32_e32 v6, 0xfffffc10, v6
	v_or_b32_e32 v4, v11, v4
	v_lshl_or_b32 v7, v6, 12, v2
	v_cmp_gt_i32_e32 vcc, 1, v6
	v_cndmask_b32_e32 v4, v7, v4, vcc
	v_and_b32_e32 v7, 7, v4
	v_lshrrev_b32_e32 v11, 16, v3
	v_cmp_lt_i32_e32 vcc, 5, v7
	v_cmp_eq_u32_e64 s[0:1], 3, v7
	v_mul_f16_sdwa v7, v86, v11 dst_sel:DWORD dst_unused:UNUSED_PAD src0_sel:WORD_1 src1_sel:DWORD
	v_fma_f16 v7, v86, v3, v7
	v_lshrrev_b32_e32 v4, 2, v4
	s_or_b64 vcc, s[0:1], vcc
	v_cvt_f32_f16_e32 v7, v7
	v_addc_co_u32_e32 v4, vcc, 0, v4, vcc
	v_cmp_gt_i32_e32 vcc, 31, v6
	v_cndmask_b32_e32 v4, v8, v4, vcc
	v_cmp_ne_u32_e32 vcc, 0, v2
	v_cndmask_b32_e64 v2, 0, 1, vcc
	v_cmp_eq_u32_e32 vcc, s10, v6
	v_cvt_f64_f32_e32 v[6:7], v7
	v_lshl_or_b32 v2, v2, 9, v8
	v_cndmask_b32_e32 v2, v4, v2, vcc
	v_lshrrev_b32_e32 v4, 16, v12
	v_mul_f64 v[6:7], v[6:7], s[2:3]
	v_and_or_b32 v2, v4, s11, v2
	v_and_b32_e32 v0, 0xffff, v0
	v_lshl_or_b32 v0, v2, 16, v0
	v_mov_b32_e32 v2, s9
	v_add_co_u32_e32 v9, vcc, s8, v9
	v_addc_co_u32_e32 v10, vcc, v10, v2, vcc
	global_store_dword v[9:10], v0, off
	v_and_or_b32 v0, v7, s6, v6
	v_cmp_ne_u32_e32 vcc, 0, v0
	v_cndmask_b32_e64 v0, 0, 1, vcc
	v_lshrrev_b32_e32 v2, 8, v7
	v_bfe_u32 v4, v7, 20, 11
	v_and_or_b32 v0, v2, s7, v0
	v_sub_u32_e32 v6, 0x3f1, v4
	v_or_b32_e32 v2, 0x1000, v0
	v_med3_i32 v6, v6, 0, 13
	v_lshrrev_b32_e32 v12, v6, v2
	v_lshlrev_b32_e32 v6, v6, v12
	v_mul_f16_sdwa v3, v86, v3 dst_sel:DWORD dst_unused:UNUSED_PAD src0_sel:WORD_1 src1_sel:DWORD
	v_cmp_ne_u32_e32 vcc, v6, v2
	v_fma_f16 v3, v86, v11, -v3
	v_cndmask_b32_e64 v2, 0, 1, vcc
	v_add_u32_e32 v4, 0xfffffc10, v4
	v_cvt_f32_f16_e32 v3, v3
	v_or_b32_e32 v2, v12, v2
	v_lshl_or_b32 v6, v4, 12, v0
	v_cmp_gt_i32_e32 vcc, 1, v4
	v_cndmask_b32_e32 v2, v6, v2, vcc
	v_and_b32_e32 v6, 7, v2
	v_cmp_lt_i32_e32 vcc, 5, v6
	v_cmp_eq_u32_e64 s[0:1], 3, v6
	v_lshrrev_b32_e32 v6, 2, v2
	v_cvt_f64_f32_e32 v[2:3], v3
	s_or_b64 vcc, s[0:1], vcc
	v_addc_co_u32_e32 v6, vcc, 0, v6, vcc
	v_mul_f64 v[2:3], v[2:3], s[2:3]
	v_cmp_gt_i32_e32 vcc, 31, v4
	v_cndmask_b32_e32 v6, v8, v6, vcc
	v_cmp_ne_u32_e32 vcc, 0, v0
	v_cndmask_b32_e64 v0, 0, 1, vcc
	v_lshl_or_b32 v0, v0, 9, v8
	v_cmp_eq_u32_e32 vcc, s10, v4
	v_cndmask_b32_e32 v0, v6, v0, vcc
	v_and_or_b32 v2, v3, s6, v2
	v_lshrrev_b32_e32 v4, 16, v7
	v_cmp_ne_u32_e32 vcc, 0, v2
	v_and_or_b32 v0, v4, s11, v0
	v_cndmask_b32_e64 v2, 0, 1, vcc
	v_lshrrev_b32_e32 v4, 8, v3
	v_bfe_u32 v6, v3, 20, 11
	v_and_or_b32 v2, v4, s7, v2
	v_sub_u32_e32 v7, 0x3f1, v6
	v_or_b32_e32 v4, 0x1000, v2
	v_med3_i32 v7, v7, 0, 13
	v_lshrrev_b32_e32 v11, v7, v4
	v_lshlrev_b32_e32 v7, v7, v11
	v_cmp_ne_u32_e32 vcc, v7, v4
	v_cndmask_b32_e64 v4, 0, 1, vcc
	v_add_u32_e32 v6, 0xfffffc10, v6
	v_or_b32_e32 v4, v11, v4
	v_lshl_or_b32 v7, v6, 12, v2
	v_cmp_gt_i32_e32 vcc, 1, v6
	v_cndmask_b32_e32 v4, v7, v4, vcc
	v_and_b32_e32 v7, 7, v4
	v_lshrrev_b32_e32 v11, 16, v1
	v_cmp_lt_i32_e32 vcc, 5, v7
	v_cmp_eq_u32_e64 s[0:1], 3, v7
	v_mul_f16_sdwa v7, v84, v11 dst_sel:DWORD dst_unused:UNUSED_PAD src0_sel:WORD_1 src1_sel:DWORD
	v_fma_f16 v7, v84, v1, v7
	v_lshrrev_b32_e32 v4, 2, v4
	s_or_b64 vcc, s[0:1], vcc
	v_cvt_f32_f16_e32 v7, v7
	v_addc_co_u32_e32 v4, vcc, 0, v4, vcc
	v_cmp_gt_i32_e32 vcc, 31, v6
	v_cndmask_b32_e32 v4, v8, v4, vcc
	v_cmp_ne_u32_e32 vcc, 0, v2
	v_cndmask_b32_e64 v2, 0, 1, vcc
	v_cmp_eq_u32_e32 vcc, s10, v6
	v_cvt_f64_f32_e32 v[6:7], v7
	v_lshl_or_b32 v2, v2, 9, v8
	v_cndmask_b32_e32 v2, v4, v2, vcc
	v_lshrrev_b32_e32 v3, 16, v3
	v_and_or_b32 v4, v3, s11, v2
	v_mul_f64 v[2:3], v[6:7], s[2:3]
	v_and_b32_e32 v0, 0xffff, v0
	v_lshl_or_b32 v0, v4, 16, v0
	v_mov_b32_e32 v4, s4
	v_add_co_u32_e32 v6, vcc, s5, v9
	v_addc_co_u32_e32 v7, vcc, v10, v4, vcc
	global_store_dword v[6:7], v0, off
	v_and_or_b32 v0, v3, s6, v2
	v_cmp_ne_u32_e32 vcc, 0, v0
	v_cndmask_b32_e64 v0, 0, 1, vcc
	v_lshrrev_b32_e32 v2, 8, v3
	v_bfe_u32 v4, v3, 20, 11
	v_and_or_b32 v2, v2, s7, v0
	v_sub_u32_e32 v9, 0x3f1, v4
	v_or_b32_e32 v0, 0x1000, v2
	v_med3_i32 v9, v9, 0, 13
	v_lshrrev_b32_e32 v10, v9, v0
	v_lshlrev_b32_e32 v9, v9, v10
	v_mul_f16_sdwa v1, v84, v1 dst_sel:DWORD dst_unused:UNUSED_PAD src0_sel:WORD_1 src1_sel:DWORD
	v_cmp_ne_u32_e32 vcc, v9, v0
	v_fma_f16 v1, v84, v11, -v1
	v_cndmask_b32_e64 v0, 0, 1, vcc
	v_add_u32_e32 v4, 0xfffffc10, v4
	v_cvt_f32_f16_e32 v1, v1
	v_or_b32_e32 v0, v10, v0
	v_lshl_or_b32 v9, v4, 12, v2
	v_cmp_gt_i32_e32 vcc, 1, v4
	v_cndmask_b32_e32 v0, v9, v0, vcc
	v_and_b32_e32 v9, 7, v0
	v_cmp_lt_i32_e32 vcc, 5, v9
	v_cmp_eq_u32_e64 s[0:1], 3, v9
	v_lshrrev_b32_e32 v9, 2, v0
	v_cvt_f64_f32_e32 v[0:1], v1
	s_or_b64 vcc, s[0:1], vcc
	v_addc_co_u32_e32 v9, vcc, 0, v9, vcc
	v_mul_f64 v[0:1], v[0:1], s[2:3]
	v_cmp_gt_i32_e32 vcc, 31, v4
	v_cndmask_b32_e32 v9, v8, v9, vcc
	v_cmp_ne_u32_e32 vcc, 0, v2
	v_cndmask_b32_e64 v2, 0, 1, vcc
	v_lshl_or_b32 v2, v2, 9, v8
	v_cmp_eq_u32_e32 vcc, s10, v4
	v_cndmask_b32_e32 v2, v9, v2, vcc
	v_and_or_b32 v0, v1, s6, v0
	v_lshrrev_b32_e32 v3, 16, v3
	v_cmp_ne_u32_e32 vcc, 0, v0
	v_and_or_b32 v4, v3, s11, v2
	v_cndmask_b32_e64 v0, 0, 1, vcc
	v_lshrrev_b32_e32 v2, 8, v1
	v_bfe_u32 v3, v1, 20, 11
	v_and_or_b32 v0, v2, s7, v0
	v_sub_u32_e32 v9, 0x3f1, v3
	v_or_b32_e32 v2, 0x1000, v0
	v_med3_i32 v9, v9, 0, 13
	v_lshrrev_b32_e32 v10, v9, v2
	v_lshlrev_b32_e32 v9, v9, v10
	v_cmp_ne_u32_e32 vcc, v9, v2
	v_cndmask_b32_e64 v2, 0, 1, vcc
	v_add_u32_e32 v3, 0xfffffc10, v3
	v_or_b32_e32 v2, v10, v2
	v_lshl_or_b32 v9, v3, 12, v0
	v_cmp_gt_i32_e32 vcc, 1, v3
	v_cndmask_b32_e32 v2, v9, v2, vcc
	v_and_b32_e32 v9, 7, v2
	v_cmp_lt_i32_e32 vcc, 5, v9
	v_cmp_eq_u32_e64 s[0:1], 3, v9
	v_lshrrev_b32_e32 v9, 16, v5
	v_lshrrev_b32_e32 v2, 2, v2
	s_or_b64 vcc, s[0:1], vcc
	v_mul_f16_sdwa v10, v83, v9 dst_sel:DWORD dst_unused:UNUSED_PAD src0_sel:WORD_1 src1_sel:DWORD
	v_addc_co_u32_e32 v2, vcc, 0, v2, vcc
	v_fma_f16 v10, v83, v5, v10
	v_cmp_gt_i32_e32 vcc, 31, v3
	v_cvt_f32_f16_e32 v10, v10
	v_cndmask_b32_e32 v2, v8, v2, vcc
	v_cmp_ne_u32_e32 vcc, 0, v0
	v_cndmask_b32_e64 v0, 0, 1, vcc
	v_lshl_or_b32 v0, v0, 9, v8
	v_cmp_eq_u32_e32 vcc, s10, v3
	v_cndmask_b32_e32 v0, v2, v0, vcc
	v_cvt_f64_f32_e32 v[2:3], v10
	v_lshrrev_b32_e32 v1, 16, v1
	v_and_or_b32 v10, v1, s11, v0
	v_and_b32_e32 v4, 0xffff, v4
	v_mul_f64 v[0:1], v[2:3], s[2:3]
	v_mov_b32_e32 v3, s4
	v_add_co_u32_e32 v2, vcc, s5, v6
	v_addc_co_u32_e32 v3, vcc, v7, v3, vcc
	v_lshl_or_b32 v4, v10, 16, v4
	global_store_dword v[2:3], v4, off
	v_and_or_b32 v0, v1, s6, v0
	v_cmp_ne_u32_e32 vcc, 0, v0
	v_cndmask_b32_e64 v0, 0, 1, vcc
	v_lshrrev_b32_e32 v4, 8, v1
	v_bfe_u32 v6, v1, 20, 11
	v_and_or_b32 v0, v4, s7, v0
	v_sub_u32_e32 v7, 0x3f1, v6
	v_or_b32_e32 v4, 0x1000, v0
	v_med3_i32 v7, v7, 0, 13
	v_lshrrev_b32_e32 v10, v7, v4
	v_lshlrev_b32_e32 v7, v7, v10
	v_mul_f16_sdwa v5, v83, v5 dst_sel:DWORD dst_unused:UNUSED_PAD src0_sel:WORD_1 src1_sel:DWORD
	v_cmp_ne_u32_e32 vcc, v7, v4
	v_fma_f16 v5, v83, v9, -v5
	v_cndmask_b32_e64 v4, 0, 1, vcc
	v_add_u32_e32 v6, 0xfffffc10, v6
	v_cvt_f32_f16_e32 v5, v5
	v_or_b32_e32 v4, v10, v4
	v_lshl_or_b32 v7, v6, 12, v0
	v_cmp_gt_i32_e32 vcc, 1, v6
	v_cndmask_b32_e32 v4, v7, v4, vcc
	v_and_b32_e32 v7, 7, v4
	v_cmp_lt_i32_e32 vcc, 5, v7
	v_cmp_eq_u32_e64 s[0:1], 3, v7
	v_lshrrev_b32_e32 v7, 2, v4
	v_cvt_f64_f32_e32 v[4:5], v5
	s_or_b64 vcc, s[0:1], vcc
	v_addc_co_u32_e32 v7, vcc, 0, v7, vcc
	v_mul_f64 v[4:5], v[4:5], s[2:3]
	v_cmp_gt_i32_e32 vcc, 31, v6
	v_cndmask_b32_e32 v7, v8, v7, vcc
	v_cmp_ne_u32_e32 vcc, 0, v0
	v_cndmask_b32_e64 v0, 0, 1, vcc
	v_lshl_or_b32 v0, v0, 9, v8
	v_cmp_eq_u32_e32 vcc, s10, v6
	v_cndmask_b32_e32 v0, v7, v0, vcc
	v_lshrrev_b32_e32 v1, 16, v1
	v_and_or_b32 v6, v1, s11, v0
	v_and_or_b32 v0, v5, s6, v4
	v_cmp_ne_u32_e32 vcc, 0, v0
	v_cndmask_b32_e64 v0, 0, 1, vcc
	v_lshrrev_b32_e32 v1, 8, v5
	v_bfe_u32 v4, v5, 20, 11
	v_and_or_b32 v0, v1, s7, v0
	v_sub_u32_e32 v7, 0x3f1, v4
	v_or_b32_e32 v1, 0x1000, v0
	v_med3_i32 v7, v7, 0, 13
	v_lshrrev_b32_e32 v9, v7, v1
	v_lshlrev_b32_e32 v7, v7, v9
	v_cmp_ne_u32_e32 vcc, v7, v1
	v_cndmask_b32_e64 v1, 0, 1, vcc
	v_add_u32_e32 v4, 0xfffffc10, v4
	v_or_b32_e32 v1, v9, v1
	v_lshl_or_b32 v7, v4, 12, v0
	v_cmp_gt_i32_e32 vcc, 1, v4
	v_cndmask_b32_e32 v1, v7, v1, vcc
	v_and_b32_e32 v7, 7, v1
	v_cmp_lt_i32_e32 vcc, 5, v7
	v_cmp_eq_u32_e64 s[0:1], 3, v7
	ds_read_b32 v7, v81 offset:12000
	v_lshrrev_b32_e32 v1, 2, v1
	s_or_b64 vcc, s[0:1], vcc
	v_addc_co_u32_e32 v1, vcc, 0, v1, vcc
	s_waitcnt lgkmcnt(0)
	v_lshrrev_b32_e32 v9, 16, v7
	v_mul_f16_sdwa v10, v82, v9 dst_sel:DWORD dst_unused:UNUSED_PAD src0_sel:WORD_1 src1_sel:DWORD
	v_fma_f16 v10, v82, v7, v10
	v_cmp_gt_i32_e32 vcc, 31, v4
	v_cvt_f32_f16_e32 v10, v10
	v_cndmask_b32_e32 v1, v8, v1, vcc
	v_cmp_ne_u32_e32 vcc, 0, v0
	v_cndmask_b32_e64 v0, 0, 1, vcc
	v_lshl_or_b32 v0, v0, 9, v8
	v_cmp_eq_u32_e32 vcc, s10, v4
	v_cndmask_b32_e32 v4, v1, v0, vcc
	v_cvt_f64_f32_e32 v[0:1], v10
	v_lshrrev_b32_e32 v5, 16, v5
	v_and_or_b32 v4, v5, s11, v4
	v_and_b32_e32 v5, 0xffff, v6
	v_mul_f64 v[0:1], v[0:1], s[2:3]
	v_lshl_or_b32 v4, v4, 16, v5
	v_mov_b32_e32 v5, s4
	v_add_co_u32_e32 v2, vcc, s5, v2
	v_addc_co_u32_e32 v3, vcc, v3, v5, vcc
	global_store_dword v[2:3], v4, off
	v_and_or_b32 v0, v1, s6, v0
	v_cmp_ne_u32_e32 vcc, 0, v0
	v_cndmask_b32_e64 v0, 0, 1, vcc
	v_lshrrev_b32_e32 v4, 8, v1
	v_bfe_u32 v5, v1, 20, 11
	v_and_or_b32 v0, v4, s7, v0
	v_sub_u32_e32 v6, 0x3f1, v5
	v_or_b32_e32 v4, 0x1000, v0
	v_med3_i32 v6, v6, 0, 13
	v_lshrrev_b32_e32 v10, v6, v4
	v_lshlrev_b32_e32 v6, v6, v10
	v_mul_f16_sdwa v7, v82, v7 dst_sel:DWORD dst_unused:UNUSED_PAD src0_sel:WORD_1 src1_sel:DWORD
	v_cmp_ne_u32_e32 vcc, v6, v4
	v_fma_f16 v7, v82, v9, -v7
	v_cndmask_b32_e64 v4, 0, 1, vcc
	v_add_u32_e32 v6, 0xfffffc10, v5
	v_cvt_f32_f16_e32 v7, v7
	v_or_b32_e32 v4, v10, v4
	v_lshl_or_b32 v5, v6, 12, v0
	v_cmp_gt_i32_e32 vcc, 1, v6
	v_cndmask_b32_e32 v4, v5, v4, vcc
	v_and_b32_e32 v5, 7, v4
	v_cmp_lt_i32_e32 vcc, 5, v5
	v_cmp_eq_u32_e64 s[0:1], 3, v5
	v_lshrrev_b32_e32 v9, 2, v4
	v_cvt_f64_f32_e32 v[4:5], v7
	s_or_b64 vcc, s[0:1], vcc
	v_addc_co_u32_e32 v7, vcc, 0, v9, vcc
	v_mul_f64 v[4:5], v[4:5], s[2:3]
	v_cmp_gt_i32_e32 vcc, 31, v6
	v_cndmask_b32_e32 v7, v8, v7, vcc
	v_cmp_ne_u32_e32 vcc, 0, v0
	v_cndmask_b32_e64 v0, 0, 1, vcc
	v_lshl_or_b32 v0, v0, 9, v8
	v_cmp_eq_u32_e32 vcc, s10, v6
	v_cndmask_b32_e32 v0, v7, v0, vcc
	v_lshrrev_b32_e32 v1, 16, v1
	v_and_or_b32 v0, v1, s11, v0
	v_and_or_b32 v1, v5, s6, v4
	v_cmp_ne_u32_e32 vcc, 0, v1
	v_cndmask_b32_e64 v1, 0, 1, vcc
	v_lshrrev_b32_e32 v4, 8, v5
	v_bfe_u32 v6, v5, 20, 11
	v_and_or_b32 v1, v4, s7, v1
	v_sub_u32_e32 v7, 0x3f1, v6
	v_or_b32_e32 v4, 0x1000, v1
	v_med3_i32 v7, v7, 0, 13
	v_lshrrev_b32_e32 v9, v7, v4
	v_lshlrev_b32_e32 v7, v7, v9
	v_cmp_ne_u32_e32 vcc, v7, v4
	v_cndmask_b32_e64 v4, 0, 1, vcc
	v_add_u32_e32 v6, 0xfffffc10, v6
	v_or_b32_e32 v4, v9, v4
	v_lshl_or_b32 v7, v6, 12, v1
	v_cmp_gt_i32_e32 vcc, 1, v6
	v_cndmask_b32_e32 v4, v7, v4, vcc
	v_and_b32_e32 v7, 7, v4
	v_cmp_lt_i32_e32 vcc, 5, v7
	v_cmp_eq_u32_e64 s[0:1], 3, v7
	v_lshrrev_b32_e32 v4, 2, v4
	s_or_b64 vcc, s[0:1], vcc
	v_addc_co_u32_e32 v4, vcc, 0, v4, vcc
	v_cmp_gt_i32_e32 vcc, 31, v6
	v_cndmask_b32_e32 v4, v8, v4, vcc
	v_cmp_ne_u32_e32 vcc, 0, v1
	v_cndmask_b32_e64 v1, 0, 1, vcc
	v_lshl_or_b32 v1, v1, 9, v8
	v_cmp_eq_u32_e32 vcc, s10, v6
	v_cndmask_b32_e32 v1, v4, v1, vcc
	v_lshrrev_b32_e32 v4, 16, v5
	v_and_or_b32 v1, v4, s11, v1
	v_and_b32_e32 v0, 0xffff, v0
	v_lshl_or_b32 v4, v1, 16, v0
	v_mov_b32_e32 v1, s4
	v_add_co_u32_e32 v0, vcc, s5, v2
	v_addc_co_u32_e32 v1, vcc, v3, v1, vcc
	global_store_dword v[0:1], v4, off
.LBB0_2:
	s_endpgm
	.section	.rodata,"a",@progbits
	.p2align	6, 0x0
	.amdhsa_kernel bluestein_single_back_len3125_dim1_half_op_CI_CI
		.amdhsa_group_segment_fixed_size 12500
		.amdhsa_private_segment_fixed_size 0
		.amdhsa_kernarg_size 104
		.amdhsa_user_sgpr_count 6
		.amdhsa_user_sgpr_private_segment_buffer 1
		.amdhsa_user_sgpr_dispatch_ptr 0
		.amdhsa_user_sgpr_queue_ptr 0
		.amdhsa_user_sgpr_kernarg_segment_ptr 1
		.amdhsa_user_sgpr_dispatch_id 0
		.amdhsa_user_sgpr_flat_scratch_init 0
		.amdhsa_user_sgpr_private_segment_size 0
		.amdhsa_uses_dynamic_stack 0
		.amdhsa_system_sgpr_private_segment_wavefront_offset 0
		.amdhsa_system_sgpr_workgroup_id_x 1
		.amdhsa_system_sgpr_workgroup_id_y 0
		.amdhsa_system_sgpr_workgroup_id_z 0
		.amdhsa_system_sgpr_workgroup_info 0
		.amdhsa_system_vgpr_workitem_id 0
		.amdhsa_next_free_vgpr 192
		.amdhsa_next_free_sgpr 20
		.amdhsa_reserve_vcc 1
		.amdhsa_reserve_flat_scratch 0
		.amdhsa_float_round_mode_32 0
		.amdhsa_float_round_mode_16_64 0
		.amdhsa_float_denorm_mode_32 3
		.amdhsa_float_denorm_mode_16_64 3
		.amdhsa_dx10_clamp 1
		.amdhsa_ieee_mode 1
		.amdhsa_fp16_overflow 0
		.amdhsa_exception_fp_ieee_invalid_op 0
		.amdhsa_exception_fp_denorm_src 0
		.amdhsa_exception_fp_ieee_div_zero 0
		.amdhsa_exception_fp_ieee_overflow 0
		.amdhsa_exception_fp_ieee_underflow 0
		.amdhsa_exception_fp_ieee_inexact 0
		.amdhsa_exception_int_div_zero 0
	.end_amdhsa_kernel
	.text
.Lfunc_end0:
	.size	bluestein_single_back_len3125_dim1_half_op_CI_CI, .Lfunc_end0-bluestein_single_back_len3125_dim1_half_op_CI_CI
                                        ; -- End function
	.section	.AMDGPU.csdata,"",@progbits
; Kernel info:
; codeLenInByte = 44780
; NumSgprs: 24
; NumVgprs: 192
; ScratchSize: 0
; MemoryBound: 0
; FloatMode: 240
; IeeeMode: 1
; LDSByteSize: 12500 bytes/workgroup (compile time only)
; SGPRBlocks: 2
; VGPRBlocks: 47
; NumSGPRsForWavesPerEU: 24
; NumVGPRsForWavesPerEU: 192
; Occupancy: 1
; WaveLimiterHint : 1
; COMPUTE_PGM_RSRC2:SCRATCH_EN: 0
; COMPUTE_PGM_RSRC2:USER_SGPR: 6
; COMPUTE_PGM_RSRC2:TRAP_HANDLER: 0
; COMPUTE_PGM_RSRC2:TGID_X_EN: 1
; COMPUTE_PGM_RSRC2:TGID_Y_EN: 0
; COMPUTE_PGM_RSRC2:TGID_Z_EN: 0
; COMPUTE_PGM_RSRC2:TIDIG_COMP_CNT: 0
	.type	__hip_cuid_ed47cf4b7a65e3a,@object ; @__hip_cuid_ed47cf4b7a65e3a
	.section	.bss,"aw",@nobits
	.globl	__hip_cuid_ed47cf4b7a65e3a
__hip_cuid_ed47cf4b7a65e3a:
	.byte	0                               ; 0x0
	.size	__hip_cuid_ed47cf4b7a65e3a, 1

	.ident	"AMD clang version 19.0.0git (https://github.com/RadeonOpenCompute/llvm-project roc-6.4.0 25133 c7fe45cf4b819c5991fe208aaa96edf142730f1d)"
	.section	".note.GNU-stack","",@progbits
	.addrsig
	.addrsig_sym __hip_cuid_ed47cf4b7a65e3a
	.amdgpu_metadata
---
amdhsa.kernels:
  - .args:
      - .actual_access:  read_only
        .address_space:  global
        .offset:         0
        .size:           8
        .value_kind:     global_buffer
      - .actual_access:  read_only
        .address_space:  global
        .offset:         8
        .size:           8
        .value_kind:     global_buffer
      - .actual_access:  read_only
        .address_space:  global
        .offset:         16
        .size:           8
        .value_kind:     global_buffer
      - .actual_access:  read_only
        .address_space:  global
        .offset:         24
        .size:           8
        .value_kind:     global_buffer
      - .actual_access:  read_only
        .address_space:  global
        .offset:         32
        .size:           8
        .value_kind:     global_buffer
      - .offset:         40
        .size:           8
        .value_kind:     by_value
      - .address_space:  global
        .offset:         48
        .size:           8
        .value_kind:     global_buffer
      - .address_space:  global
        .offset:         56
        .size:           8
        .value_kind:     global_buffer
      - .address_space:  global
        .offset:         64
        .size:           8
        .value_kind:     global_buffer
      - .address_space:  global
        .offset:         72
        .size:           8
        .value_kind:     global_buffer
      - .offset:         80
        .size:           4
        .value_kind:     by_value
      - .address_space:  global
        .offset:         88
        .size:           8
        .value_kind:     global_buffer
      - .address_space:  global
        .offset:         96
        .size:           8
        .value_kind:     global_buffer
    .group_segment_fixed_size: 12500
    .kernarg_segment_align: 8
    .kernarg_segment_size: 104
    .language:       OpenCL C
    .language_version:
      - 2
      - 0
    .max_flat_workgroup_size: 125
    .name:           bluestein_single_back_len3125_dim1_half_op_CI_CI
    .private_segment_fixed_size: 0
    .sgpr_count:     24
    .sgpr_spill_count: 0
    .symbol:         bluestein_single_back_len3125_dim1_half_op_CI_CI.kd
    .uniform_work_group_size: 1
    .uses_dynamic_stack: false
    .vgpr_count:     192
    .vgpr_spill_count: 0
    .wavefront_size: 64
amdhsa.target:   amdgcn-amd-amdhsa--gfx906
amdhsa.version:
  - 1
  - 2
...

	.end_amdgpu_metadata
